;; amdgpu-corpus repo=ROCm/rocFFT kind=compiled arch=gfx950 opt=O3
	.text
	.amdgcn_target "amdgcn-amd-amdhsa--gfx950"
	.amdhsa_code_object_version 6
	.protected	fft_rtc_back_len2040_factors_17_4_3_10_wgs_170_tpt_170_halfLds_dp_ip_CI_unitstride_sbrr_R2C_dirReg ; -- Begin function fft_rtc_back_len2040_factors_17_4_3_10_wgs_170_tpt_170_halfLds_dp_ip_CI_unitstride_sbrr_R2C_dirReg
	.globl	fft_rtc_back_len2040_factors_17_4_3_10_wgs_170_tpt_170_halfLds_dp_ip_CI_unitstride_sbrr_R2C_dirReg
	.p2align	8
	.type	fft_rtc_back_len2040_factors_17_4_3_10_wgs_170_tpt_170_halfLds_dp_ip_CI_unitstride_sbrr_R2C_dirReg,@function
fft_rtc_back_len2040_factors_17_4_3_10_wgs_170_tpt_170_halfLds_dp_ip_CI_unitstride_sbrr_R2C_dirReg: ; @fft_rtc_back_len2040_factors_17_4_3_10_wgs_170_tpt_170_halfLds_dp_ip_CI_unitstride_sbrr_R2C_dirReg
; %bb.0:
	s_load_dwordx2 s[8:9], s[0:1], 0x50
	s_load_dwordx4 s[4:7], s[0:1], 0x0
	s_load_dwordx2 s[10:11], s[0:1], 0x18
	v_mul_u32_u24_e32 v1, 0x182, v0
	v_add_u32_sdwa v6, s2, v1 dst_sel:DWORD dst_unused:UNUSED_PAD src0_sel:DWORD src1_sel:WORD_1
	v_mov_b32_e32 v4, 0
	s_waitcnt lgkmcnt(0)
	v_cmp_lt_u64_e64 s[2:3], s[6:7], 2
	v_mov_b32_e32 v7, v4
	s_and_b64 vcc, exec, s[2:3]
	v_mov_b64_e32 v[2:3], 0
	s_cbranch_vccnz .LBB0_8
; %bb.1:
	s_load_dwordx2 s[2:3], s[0:1], 0x10
	s_add_u32 s12, s10, 8
	s_addc_u32 s13, s11, 0
	s_mov_b64 s[14:15], 1
	v_mov_b64_e32 v[2:3], 0
	s_waitcnt lgkmcnt(0)
	s_add_u32 s16, s2, 8
	s_addc_u32 s17, s3, 0
.LBB0_2:                                ; =>This Inner Loop Header: Depth=1
	s_load_dwordx2 s[18:19], s[16:17], 0x0
                                        ; implicit-def: $vgpr8_vgpr9
	s_waitcnt lgkmcnt(0)
	v_or_b32_e32 v5, s19, v7
	v_cmp_ne_u64_e32 vcc, 0, v[4:5]
	s_and_saveexec_b64 s[2:3], vcc
	s_xor_b64 s[20:21], exec, s[2:3]
	s_cbranch_execz .LBB0_4
; %bb.3:                                ;   in Loop: Header=BB0_2 Depth=1
	v_cvt_f32_u32_e32 v1, s18
	v_cvt_f32_u32_e32 v5, s19
	s_sub_u32 s2, 0, s18
	s_subb_u32 s3, 0, s19
	v_fmac_f32_e32 v1, 0x4f800000, v5
	v_rcp_f32_e32 v1, v1
	s_nop 0
	v_mul_f32_e32 v1, 0x5f7ffffc, v1
	v_mul_f32_e32 v5, 0x2f800000, v1
	v_trunc_f32_e32 v5, v5
	v_fmac_f32_e32 v1, 0xcf800000, v5
	v_cvt_u32_f32_e32 v5, v5
	v_cvt_u32_f32_e32 v1, v1
	v_mul_lo_u32 v8, s2, v5
	v_mul_hi_u32 v10, s2, v1
	v_mul_lo_u32 v9, s3, v1
	v_add_u32_e32 v10, v10, v8
	v_mul_lo_u32 v12, s2, v1
	v_add_u32_e32 v13, v10, v9
	v_mul_hi_u32 v8, v1, v12
	v_mul_hi_u32 v11, v1, v13
	v_mul_lo_u32 v10, v1, v13
	v_mov_b32_e32 v9, v4
	v_lshl_add_u64 v[8:9], v[8:9], 0, v[10:11]
	v_mul_hi_u32 v11, v5, v12
	v_mul_lo_u32 v12, v5, v12
	v_add_co_u32_e32 v8, vcc, v8, v12
	v_mul_hi_u32 v10, v5, v13
	s_nop 0
	v_addc_co_u32_e32 v8, vcc, v9, v11, vcc
	v_mov_b32_e32 v9, v4
	s_nop 0
	v_addc_co_u32_e32 v11, vcc, 0, v10, vcc
	v_mul_lo_u32 v10, v5, v13
	v_lshl_add_u64 v[8:9], v[8:9], 0, v[10:11]
	v_add_co_u32_e32 v1, vcc, v1, v8
	v_mul_lo_u32 v10, s2, v1
	s_nop 0
	v_addc_co_u32_e32 v5, vcc, v5, v9, vcc
	v_mul_lo_u32 v8, s2, v5
	v_mul_hi_u32 v9, s2, v1
	v_add_u32_e32 v8, v9, v8
	v_mul_lo_u32 v9, s3, v1
	v_add_u32_e32 v12, v8, v9
	v_mul_hi_u32 v14, v5, v10
	v_mul_lo_u32 v15, v5, v10
	v_mul_hi_u32 v9, v1, v12
	v_mul_lo_u32 v8, v1, v12
	v_mul_hi_u32 v10, v1, v10
	v_mov_b32_e32 v11, v4
	v_lshl_add_u64 v[8:9], v[10:11], 0, v[8:9]
	v_add_co_u32_e32 v8, vcc, v8, v15
	v_mul_hi_u32 v13, v5, v12
	s_nop 0
	v_addc_co_u32_e32 v8, vcc, v9, v14, vcc
	v_mul_lo_u32 v10, v5, v12
	s_nop 0
	v_addc_co_u32_e32 v11, vcc, 0, v13, vcc
	v_mov_b32_e32 v9, v4
	v_lshl_add_u64 v[8:9], v[8:9], 0, v[10:11]
	v_add_co_u32_e32 v1, vcc, v1, v8
	v_mul_hi_u32 v10, v6, v1
	s_nop 0
	v_addc_co_u32_e32 v5, vcc, v5, v9, vcc
	v_mad_u64_u32 v[8:9], s[2:3], v6, v5, 0
	v_mov_b32_e32 v11, v4
	v_lshl_add_u64 v[8:9], v[10:11], 0, v[8:9]
	v_mad_u64_u32 v[12:13], s[2:3], v7, v1, 0
	v_add_co_u32_e32 v1, vcc, v8, v12
	v_mad_u64_u32 v[10:11], s[2:3], v7, v5, 0
	s_nop 0
	v_addc_co_u32_e32 v8, vcc, v9, v13, vcc
	v_mov_b32_e32 v9, v4
	s_nop 0
	v_addc_co_u32_e32 v11, vcc, 0, v11, vcc
	v_lshl_add_u64 v[8:9], v[8:9], 0, v[10:11]
	v_mul_lo_u32 v1, s19, v8
	v_mul_lo_u32 v5, s18, v9
	v_mad_u64_u32 v[10:11], s[2:3], s18, v8, 0
	v_add3_u32 v1, v11, v5, v1
	v_sub_u32_e32 v5, v7, v1
	v_mov_b32_e32 v11, s19
	v_sub_co_u32_e32 v14, vcc, v6, v10
	v_lshl_add_u64 v[12:13], v[8:9], 0, 1
	s_nop 0
	v_subb_co_u32_e64 v5, s[2:3], v5, v11, vcc
	v_subrev_co_u32_e64 v10, s[2:3], s18, v14
	v_subb_co_u32_e32 v1, vcc, v7, v1, vcc
	s_nop 0
	v_subbrev_co_u32_e64 v5, s[2:3], 0, v5, s[2:3]
	v_cmp_le_u32_e64 s[2:3], s19, v5
	v_cmp_le_u32_e32 vcc, s19, v1
	s_nop 0
	v_cndmask_b32_e64 v11, 0, -1, s[2:3]
	v_cmp_le_u32_e64 s[2:3], s18, v10
	s_nop 1
	v_cndmask_b32_e64 v10, 0, -1, s[2:3]
	v_cmp_eq_u32_e64 s[2:3], s19, v5
	s_nop 1
	v_cndmask_b32_e64 v5, v11, v10, s[2:3]
	v_lshl_add_u64 v[10:11], v[8:9], 0, 2
	v_cmp_ne_u32_e64 s[2:3], 0, v5
	s_nop 1
	v_cndmask_b32_e64 v5, v13, v11, s[2:3]
	v_cndmask_b32_e64 v11, 0, -1, vcc
	v_cmp_le_u32_e32 vcc, s18, v14
	s_nop 1
	v_cndmask_b32_e64 v13, 0, -1, vcc
	v_cmp_eq_u32_e32 vcc, s19, v1
	s_nop 1
	v_cndmask_b32_e32 v1, v11, v13, vcc
	v_cmp_ne_u32_e32 vcc, 0, v1
	v_cndmask_b32_e64 v1, v12, v10, s[2:3]
	s_nop 0
	v_cndmask_b32_e32 v9, v9, v5, vcc
	v_cndmask_b32_e32 v8, v8, v1, vcc
.LBB0_4:                                ;   in Loop: Header=BB0_2 Depth=1
	s_andn2_saveexec_b64 s[2:3], s[20:21]
	s_cbranch_execz .LBB0_6
; %bb.5:                                ;   in Loop: Header=BB0_2 Depth=1
	v_cvt_f32_u32_e32 v1, s18
	s_sub_i32 s20, 0, s18
	v_rcp_iflag_f32_e32 v1, v1
	s_nop 0
	v_mul_f32_e32 v1, 0x4f7ffffe, v1
	v_cvt_u32_f32_e32 v1, v1
	v_mul_lo_u32 v5, s20, v1
	v_mul_hi_u32 v5, v1, v5
	v_add_u32_e32 v1, v1, v5
	v_mul_hi_u32 v1, v6, v1
	v_mul_lo_u32 v5, v1, s18
	v_sub_u32_e32 v5, v6, v5
	v_add_u32_e32 v8, 1, v1
	v_subrev_u32_e32 v9, s18, v5
	v_cmp_le_u32_e32 vcc, s18, v5
	s_nop 1
	v_cndmask_b32_e32 v5, v5, v9, vcc
	v_cndmask_b32_e32 v1, v1, v8, vcc
	v_add_u32_e32 v8, 1, v1
	v_cmp_le_u32_e32 vcc, s18, v5
	v_mov_b32_e32 v9, v4
	s_nop 0
	v_cndmask_b32_e32 v8, v1, v8, vcc
.LBB0_6:                                ;   in Loop: Header=BB0_2 Depth=1
	s_or_b64 exec, exec, s[2:3]
	v_mad_u64_u32 v[10:11], s[2:3], v8, s18, 0
	s_load_dwordx2 s[2:3], s[12:13], 0x0
	v_mul_lo_u32 v1, v9, s18
	v_mul_lo_u32 v5, v8, s19
	v_add3_u32 v1, v11, v5, v1
	v_sub_co_u32_e32 v5, vcc, v6, v10
	s_add_u32 s14, s14, 1
	s_nop 0
	v_subb_co_u32_e32 v1, vcc, v7, v1, vcc
	s_addc_u32 s15, s15, 0
	s_waitcnt lgkmcnt(0)
	v_mul_lo_u32 v1, s2, v1
	v_mul_lo_u32 v6, s3, v5
	v_mad_u64_u32 v[2:3], s[2:3], s2, v5, v[2:3]
	s_add_u32 s12, s12, 8
	v_add3_u32 v3, v6, v3, v1
	s_addc_u32 s13, s13, 0
	v_mov_b64_e32 v[6:7], s[6:7]
	s_add_u32 s16, s16, 8
	v_cmp_ge_u64_e32 vcc, s[14:15], v[6:7]
	s_addc_u32 s17, s17, 0
	s_cbranch_vccnz .LBB0_9
; %bb.7:                                ;   in Loop: Header=BB0_2 Depth=1
	v_mov_b64_e32 v[6:7], v[8:9]
	s_branch .LBB0_2
.LBB0_8:
	v_mov_b64_e32 v[8:9], v[6:7]
.LBB0_9:
	s_lshl_b64 s[2:3], s[6:7], 3
	s_add_u32 s2, s10, s2
	s_addc_u32 s3, s11, s3
	s_load_dwordx2 s[6:7], s[2:3], 0x0
	s_load_dwordx2 s[10:11], s[0:1], 0x20
	s_mov_b32 s2, 0x1818182
	s_waitcnt lgkmcnt(0)
	v_mul_lo_u32 v1, s6, v9
	v_mul_lo_u32 v4, s7, v8
	v_mad_u64_u32 v[2:3], s[0:1], s6, v8, v[2:3]
	v_add3_u32 v3, v4, v3, v1
	v_mul_hi_u32 v1, v0, s2
	v_mul_u32_u24_e32 v1, 0xaa, v1
	v_sub_u32_e32 v122, v0, v1
	v_cmp_gt_u64_e64 s[0:1], s[10:11], v[8:9]
	v_lshl_add_u64 v[228:229], v[2:3], 4, s[8:9]
	v_lshl_add_u32 v226, v122, 4, 0
	s_and_saveexec_b64 s[2:3], s[0:1]
	s_cbranch_execz .LBB0_11
; %bb.10:
	v_mov_b32_e32 v123, 0
	v_lshl_add_u64 v[40:41], v[122:123], 4, v[228:229]
	v_add_co_u32_e32 v16, vcc, 0x1000, v40
	global_load_dwordx4 v[0:3], v[40:41], off
	global_load_dwordx4 v[4:7], v[40:41], off offset:2720
	v_addc_co_u32_e32 v17, vcc, 0, v41, vcc
	v_add_co_u32_e32 v24, vcc, 0x2000, v40
	global_load_dwordx4 v[8:11], v[16:17], off offset:1344
	global_load_dwordx4 v[12:15], v[16:17], off offset:4064
	v_addc_co_u32_e32 v25, vcc, 0, v41, vcc
	v_add_co_u32_e32 v32, vcc, 0x3000, v40
	s_nop 1
	v_addc_co_u32_e32 v33, vcc, 0, v41, vcc
	v_add_co_u32_e32 v34, vcc, 0x4000, v40
	global_load_dwordx4 v[16:19], v[24:25], off offset:2688
	global_load_dwordx4 v[20:23], v[32:33], off offset:1312
	v_addc_co_u32_e32 v35, vcc, 0, v41, vcc
	v_add_co_u32_e32 v42, vcc, 0x5000, v40
	global_load_dwordx4 v[24:27], v[32:33], off offset:4032
	global_load_dwordx4 v[28:31], v[34:35], off offset:2656
	;; [unrolled: 4-line block ×3, first 2 shown]
	v_addc_co_u32_e32 v49, vcc, 0, v41, vcc
	v_add_co_u32_e32 v50, vcc, 0x7000, v40
	s_nop 1
	v_addc_co_u32_e32 v51, vcc, 0, v41, vcc
	global_load_dwordx4 v[40:43], v[48:49], off offset:2624
	global_load_dwordx4 v[44:47], v[50:51], off offset:1248
	s_waitcnt vmcnt(11)
	ds_write_b128 v226, v[0:3]
	s_waitcnt vmcnt(10)
	ds_write_b128 v226, v[4:7] offset:2720
	s_waitcnt vmcnt(9)
	ds_write_b128 v226, v[8:11] offset:5440
	;; [unrolled: 2-line block ×11, first 2 shown]
.LBB0_11:
	s_or_b64 exec, exec, s[2:3]
	s_waitcnt lgkmcnt(0)
	s_barrier
	ds_read_b128 v[20:23], v226 offset:30720
	ds_read_b128 v[24:27], v226 offset:1920
	ds_read_b128 v[28:31], v226
	ds_read_b128 v[32:35], v226 offset:3840
	ds_read_b128 v[36:39], v226 offset:5760
	;; [unrolled: 1-line block ×4, first 2 shown]
	s_mov_b32 s10, 0x5d8e7cdc
	s_waitcnt lgkmcnt(5)
	v_add_f64 v[104:105], v[26:27], -v[22:23]
	s_mov_b32 s2, 0x370991
	s_mov_b32 s11, 0xbfd71e95
	s_mov_b32 s12, 0x2a9d6da3
	v_add_f64 v[134:135], v[24:25], v[20:21]
	v_add_f64 v[108:109], v[26:27], v[22:23]
	s_mov_b32 s3, 0x3fedd6d0
	v_mul_f64 v[98:99], v[104:105], s[10:11]
	s_mov_b32 s6, 0x75d4884
	s_mov_b32 s13, 0xbfe58eea
	s_waitcnt lgkmcnt(1)
	v_add_f64 v[106:107], v[34:35], -v[42:43]
	v_add_f64 v[136:137], v[24:25], -v[20:21]
	v_mul_f64 v[100:101], v[108:109], s[2:3]
	v_fma_f64 v[0:1], v[134:135], s[2:3], -v[98:99]
	s_mov_b32 s7, 0x3fe7a5f6
	v_add_f64 v[142:143], v[32:33], v[40:41]
	v_add_f64 v[110:111], v[34:35], v[42:43]
	v_mul_f64 v[102:103], v[106:107], s[12:13]
	s_mov_b32 s14, 0x7c9e640b
	ds_read_b128 v[48:51], v226 offset:24960
	ds_read_b128 v[52:55], v226 offset:7680
	v_add_f64 v[0:1], v[28:29], v[0:1]
	v_fma_f64 v[2:3], s[10:11], v[136:137], v[100:101]
	v_add_f64 v[144:145], v[32:33], -v[40:41]
	v_mul_f64 v[120:121], v[110:111], s[6:7]
	v_fma_f64 v[4:5], v[142:143], s[6:7], -v[102:103]
	s_mov_b32 s8, 0x2b2883cd
	s_mov_b32 s15, 0xbfeca52d
	s_waitcnt lgkmcnt(2)
	v_add_f64 v[114:115], v[38:39], -v[46:47]
	v_add_f64 v[2:3], v[30:31], v[2:3]
	v_add_f64 v[0:1], v[4:5], v[0:1]
	v_fma_f64 v[4:5], s[12:13], v[144:145], v[120:121]
	s_mov_b32 s9, 0x3fdc86fa
	v_add_f64 v[150:151], v[36:37], v[44:45]
	v_mul_f64 v[126:127], v[114:115], s[14:15]
	ds_read_b128 v[56:59], v226 offset:9600
	ds_read_b128 v[60:63], v226 offset:23040
	v_add_f64 v[2:3], v[4:5], v[2:3]
	v_fma_f64 v[4:5], v[150:151], s[8:9], -v[126:127]
	v_add_f64 v[112:113], v[38:39], v[46:47]
	v_add_f64 v[0:1], v[4:5], v[0:1]
	v_mul_f64 v[4:5], v[112:113], s[8:9]
	s_mov_b32 s18, 0xeb564b22
	ds_read_b128 v[64:67], v226 offset:21120
	ds_read_b128 v[68:71], v226 offset:11520
	v_add_f64 v[154:155], v[36:37], -v[44:45]
	v_accvgpr_write_b32 a61, v5
	s_mov_b32 s16, 0x3259b75e
	s_mov_b32 s19, 0xbfefdd0d
	s_waitcnt lgkmcnt(4)
	v_add_f64 v[118:119], v[54:55], -v[50:51]
	v_accvgpr_write_b32 a60, v4
	v_fma_f64 v[4:5], s[14:15], v[154:155], v[4:5]
	s_mov_b32 s17, 0x3fb79ee6
	v_add_f64 v[156:157], v[52:53], v[48:49]
	v_mul_f64 v[230:231], v[118:119], s[18:19]
	v_add_f64 v[116:117], v[54:55], v[50:51]
	s_mov_b32 s22, 0x923c349f
	ds_read_b128 v[72:75], v226 offset:13440
	ds_read_b128 v[76:79], v226 offset:19200
	v_add_f64 v[2:3], v[4:5], v[2:3]
	v_fma_f64 v[4:5], v[156:157], s[16:17], -v[230:231]
	v_add_f64 v[160:161], v[52:53], -v[48:49]
	v_mul_f64 v[232:233], v[116:117], s[16:17]
	s_mov_b32 s20, 0xc61f0d01
	s_mov_b32 s23, 0xbfeec746
	s_waitcnt lgkmcnt(4)
	v_add_f64 v[224:225], v[58:59], -v[62:63]
	v_add_f64 v[0:1], v[4:5], v[0:1]
	v_fma_f64 v[4:5], s[18:19], v[160:161], v[232:233]
	s_mov_b32 s21, 0xbfd183b1
	v_add_f64 v[164:165], v[56:57], v[60:61]
	v_mul_f64 v[234:235], v[224:225], s[22:23]
	v_add_f64 v[220:221], v[58:59], v[62:63]
	s_mov_b32 s26, 0x6c9a05f6
	ds_read_b128 v[80:83], v226 offset:15360
	ds_read_b128 v[84:87], v226 offset:17280
	v_add_f64 v[2:3], v[4:5], v[2:3]
	v_fma_f64 v[4:5], v[164:165], s[20:21], -v[234:235]
	v_add_f64 v[166:167], v[56:57], -v[60:61]
	v_mul_f64 v[236:237], v[220:221], s[20:21]
	s_mov_b32 s24, 0x6ed5f1bb
	s_mov_b32 s27, 0xbfe9895b
	s_waitcnt lgkmcnt(4)
	v_add_f64 v[250:251], v[70:71], -v[66:67]
	v_add_f64 v[0:1], v[4:5], v[0:1]
	v_fma_f64 v[4:5], s[22:23], v[166:167], v[236:237]
	s_mov_b32 s25, 0xbfe348c8
	v_add_f64 v[174:175], v[68:69], v[64:65]
	v_mul_f64 v[238:239], v[250:251], s[26:27]
	v_add_f64 v[246:247], v[70:71], v[66:67]
	s_mov_b32 s34, 0x4363dd80
	v_add_f64 v[2:3], v[4:5], v[2:3]
	v_fma_f64 v[4:5], v[174:175], s[24:25], -v[238:239]
	v_add_f64 v[176:177], v[68:69], -v[64:65]
	v_mul_f64 v[240:241], v[246:247], s[24:25]
	s_mov_b32 s30, 0x910ea3b9
	s_mov_b32 s35, 0x3fe0d888
	;; [unrolled: 1-line block ×4, first 2 shown]
	s_waitcnt lgkmcnt(2)
	v_add_f64 v[128:129], v[74:75], -v[78:79]
	v_add_f64 v[0:1], v[4:5], v[0:1]
	v_fma_f64 v[4:5], s[26:27], v[176:177], v[240:241]
	s_mov_b32 s31, 0xbfeb34fa
	v_add_f64 v[178:179], v[72:73], v[76:77]
	v_mul_f64 v[242:243], v[128:129], s[28:29]
	v_add_f64 v[124:125], v[74:75], v[78:79]
	s_mov_b32 s38, 0xacd6c6b4
	v_add_f64 v[2:3], v[4:5], v[2:3]
	v_fma_f64 v[4:5], v[178:179], s[30:31], -v[242:243]
	v_add_f64 v[180:181], v[72:73], -v[76:77]
	v_mul_f64 v[244:245], v[124:125], s[30:31]
	s_mov_b32 s36, 0x7faef3
	s_mov_b32 s39, 0xbfc7851a
	s_waitcnt lgkmcnt(0)
	v_add_f64 v[158:159], v[82:83], -v[86:87]
	v_add_f64 v[0:1], v[4:5], v[0:1]
	v_fma_f64 v[4:5], s[28:29], v[180:181], v[244:245]
	s_mov_b32 s37, 0xbfef7484
	v_add_f64 v[194:195], v[80:81], v[84:85]
	v_mul_f64 v[248:249], v[158:159], s[38:39]
	v_add_f64 v[152:153], v[82:83], v[86:87]
	v_add_f64 v[2:3], v[4:5], v[2:3]
	v_fma_f64 v[4:5], v[194:195], s[36:37], -v[248:249]
	v_add_f64 v[200:201], v[80:81], -v[84:85]
	v_mul_f64 v[252:253], v[152:153], s[36:37]
	v_add_f64 v[0:1], v[4:5], v[0:1]
	v_fma_f64 v[4:5], s[38:39], v[200:201], v[252:253]
	v_mul_f64 v[254:255], v[104:105], s[12:13]
	v_mul_f64 v[6:7], v[106:107], s[18:19]
	v_add_f64 v[2:3], v[4:5], v[2:3]
	v_fma_f64 v[4:5], v[134:135], s[6:7], -v[254:255]
	v_accvgpr_write_b32 a2, v6
	v_add_f64 v[4:5], v[28:29], v[4:5]
	v_accvgpr_write_b32 a3, v7
	v_fma_f64 v[6:7], v[142:143], s[16:17], -v[6:7]
	v_add_f64 v[4:5], v[6:7], v[4:5]
	v_mul_f64 v[6:7], v[108:109], s[6:7]
	v_accvgpr_write_b32 a9, v7
	v_mul_f64 v[8:9], v[110:111], s[16:17]
	v_accvgpr_write_b32 a8, v6
	v_fma_f64 v[6:7], s[12:13], v[136:137], v[6:7]
	v_accvgpr_write_b32 a11, v9
	v_add_f64 v[6:7], v[30:31], v[6:7]
	v_accvgpr_write_b32 a10, v8
	v_fma_f64 v[8:9], s[18:19], v[144:145], v[8:9]
	v_add_f64 v[6:7], v[8:9], v[6:7]
	v_mul_f64 v[8:9], v[114:115], s[26:27]
	v_accvgpr_write_b32 a4, v8
	v_accvgpr_write_b32 a5, v9
	v_fma_f64 v[8:9], v[150:151], s[24:25], -v[8:9]
	v_add_f64 v[4:5], v[8:9], v[4:5]
	v_mul_f64 v[8:9], v[112:113], s[24:25]
	v_accvgpr_write_b32 a15, v9
	v_accvgpr_write_b32 a14, v8
	v_fma_f64 v[8:9], s[26:27], v[154:155], v[8:9]
	v_add_f64 v[6:7], v[8:9], v[6:7]
	v_mul_f64 v[8:9], v[118:119], s[38:39]
	v_accvgpr_write_b32 a6, v8
	v_accvgpr_write_b32 a7, v9
	v_fma_f64 v[8:9], v[156:157], s[36:37], -v[8:9]
	v_add_f64 v[4:5], v[8:9], v[4:5]
	v_mul_f64 v[8:9], v[116:117], s[36:37]
	v_accvgpr_write_b32 a19, v9
	;; [unrolled: 10-line block ×3, first 2 shown]
	v_accvgpr_write_b32 a22, v8
	v_fma_f64 v[8:9], s[34:35], v[166:167], v[8:9]
	s_mov_b32 s45, 0x3feec746
	s_mov_b32 s44, s22
	v_add_f64 v[6:7], v[8:9], v[6:7]
	v_mul_f64 v[8:9], v[250:251], s[44:45]
	v_accvgpr_write_b32 a17, v9
	v_accvgpr_write_b32 a16, v8
	v_fma_f64 v[8:9], v[174:175], s[20:21], -v[8:9]
	v_add_f64 v[4:5], v[8:9], v[4:5]
	v_mul_f64 v[8:9], v[246:247], s[20:21]
	v_accvgpr_write_b32 a27, v9
	v_accvgpr_write_b32 a26, v8
	v_fma_f64 v[8:9], s[44:45], v[176:177], v[8:9]
	s_mov_b32 s43, 0x3feca52d
	s_mov_b32 s42, s14
	v_add_f64 v[6:7], v[8:9], v[6:7]
	v_mul_f64 v[8:9], v[128:129], s[42:43]
	v_accvgpr_write_b32 a21, v9
	v_accvgpr_write_b32 a20, v8
	v_fma_f64 v[8:9], v[178:179], s[8:9], -v[8:9]
	v_add_f64 v[4:5], v[8:9], v[4:5]
	v_mul_f64 v[8:9], v[124:125], s[8:9]
	v_accvgpr_write_b32 a29, v9
	;; [unrolled: 12-line block ×3, first 2 shown]
	v_accvgpr_write_b32 a30, v8
	v_fma_f64 v[8:9], s[46:47], v[200:201], v[8:9]
	v_add_f64 v[6:7], v[8:9], v[6:7]
	v_mul_f64 v[8:9], v[104:105], s[14:15]
	v_accvgpr_write_b32 a33, v9
	v_mul_f64 v[10:11], v[106:107], s[26:27]
	v_accvgpr_write_b32 a32, v8
	v_fma_f64 v[8:9], v[134:135], s[8:9], -v[8:9]
	v_accvgpr_write_b32 a35, v11
	v_add_f64 v[8:9], v[28:29], v[8:9]
	v_accvgpr_write_b32 a34, v10
	v_fma_f64 v[10:11], v[142:143], s[24:25], -v[10:11]
	v_add_f64 v[8:9], v[10:11], v[8:9]
	v_mul_f64 v[10:11], v[108:109], s[8:9]
	v_accvgpr_write_b32 a45, v11
	v_mul_f64 v[12:13], v[110:111], s[24:25]
	v_accvgpr_write_b32 a44, v10
	v_fma_f64 v[10:11], s[14:15], v[136:137], v[10:11]
	v_accvgpr_write_b32 a49, v13
	v_add_f64 v[10:11], v[30:31], v[10:11]
	v_accvgpr_write_b32 a48, v12
	v_fma_f64 v[12:13], s[26:27], v[144:145], v[12:13]
	s_mov_b32 s49, 0x3fc7851a
	s_mov_b32 s48, s38
	v_add_f64 v[10:11], v[12:13], v[10:11]
	v_mul_f64 v[12:13], v[114:115], s[48:49]
	v_accvgpr_write_b32 a37, v13
	v_accvgpr_write_b32 a36, v12
	v_fma_f64 v[12:13], v[150:151], s[36:37], -v[12:13]
	v_add_f64 v[8:9], v[12:13], v[8:9]
	v_mul_f64 v[12:13], v[112:113], s[36:37]
	v_accvgpr_write_b32 a53, v13
	v_accvgpr_write_b32 a52, v12
	v_fma_f64 v[12:13], s[48:49], v[154:155], v[12:13]
	v_add_f64 v[10:11], v[12:13], v[10:11]
	v_mul_f64 v[12:13], v[118:119], s[44:45]
	v_accvgpr_write_b32 a39, v13
	v_accvgpr_write_b32 a38, v12
	v_fma_f64 v[12:13], v[156:157], s[20:21], -v[12:13]
	v_add_f64 v[8:9], v[12:13], v[8:9]
	v_mul_f64 v[12:13], v[116:117], s[20:21]
	v_accvgpr_write_b32 a55, v13
	v_accvgpr_write_b32 a54, v12
	v_fma_f64 v[12:13], s[44:45], v[160:161], v[12:13]
	s_mov_b32 s51, 0x3fe58eea
	s_mov_b32 s50, s12
	v_add_f64 v[10:11], v[12:13], v[10:11]
	v_mul_f64 v[12:13], v[224:225], s[50:51]
	v_accvgpr_write_b32 a41, v13
	v_accvgpr_write_b32 a40, v12
	v_fma_f64 v[12:13], v[164:165], s[6:7], -v[12:13]
	v_mul_f64 v[130:131], v[220:221], s[6:7]
	v_add_f64 v[8:9], v[12:13], v[8:9]
	v_fma_f64 v[12:13], s[50:51], v[166:167], v[130:131]
	v_add_f64 v[10:11], v[12:13], v[10:11]
	v_mul_f64 v[12:13], v[250:251], s[10:11]
	v_accvgpr_write_b32 a43, v13
	v_accvgpr_write_b32 a42, v12
	v_fma_f64 v[12:13], v[174:175], s[2:3], -v[12:13]
	v_mul_f64 v[132:133], v[246:247], s[2:3]
	v_add_f64 v[8:9], v[12:13], v[8:9]
	v_fma_f64 v[12:13], s[10:11], v[176:177], v[132:133]
	v_add_f64 v[10:11], v[12:13], v[10:11]
	v_mul_f64 v[12:13], v[128:129], s[18:19]
	v_accvgpr_write_b32 a47, v13
	v_accvgpr_write_b32 a46, v12
	v_fma_f64 v[12:13], v[178:179], s[16:17], -v[12:13]
	v_add_f64 v[8:9], v[12:13], v[8:9]
	v_mul_f64 v[12:13], v[124:125], s[16:17]
	v_accvgpr_write_b32 a63, v13
	v_accvgpr_write_b32 a62, v12
	v_fma_f64 v[12:13], s[18:19], v[180:181], v[12:13]
	v_add_f64 v[10:11], v[12:13], v[10:11]
	v_mul_f64 v[12:13], v[158:159], s[28:29]
	v_accvgpr_write_b32 a51, v13
	v_accvgpr_write_b32 a50, v12
	v_fma_f64 v[12:13], v[194:195], s[30:31], -v[12:13]
	v_add_f64 v[8:9], v[12:13], v[8:9]
	v_mul_f64 v[12:13], v[152:153], s[30:31]
	v_accvgpr_write_b32 a65, v13
	v_accvgpr_write_b32 a64, v12
	v_fma_f64 v[12:13], s[28:29], v[200:201], v[12:13]
	v_add_f64 v[10:11], v[12:13], v[10:11]
	v_mul_f64 v[12:13], v[104:105], s[18:19]
	v_accvgpr_write_b32 a73, v13
	v_mul_f64 v[14:15], v[106:107], s[38:39]
	v_accvgpr_write_b32 a72, v12
	v_fma_f64 v[12:13], v[134:135], s[16:17], -v[12:13]
	v_accvgpr_write_b32 a75, v15
	v_add_f64 v[12:13], v[28:29], v[12:13]
	v_accvgpr_write_b32 a74, v14
	v_fma_f64 v[14:15], v[142:143], s[36:37], -v[14:15]
	v_mul_f64 v[146:147], v[108:109], s[16:17]
	v_add_f64 v[12:13], v[14:15], v[12:13]
	v_fma_f64 v[14:15], s[18:19], v[136:137], v[146:147]
	v_mul_f64 v[162:163], v[110:111], s[36:37]
	v_add_f64 v[14:15], v[30:31], v[14:15]
	v_fma_f64 v[16:17], s[38:39], v[144:145], v[162:163]
	v_mul_f64 v[138:139], v[114:115], s[44:45]
	v_add_f64 v[14:15], v[16:17], v[14:15]
	v_fma_f64 v[16:17], v[150:151], s[20:21], -v[138:139]
	v_mul_f64 v[170:171], v[112:113], s[20:21]
	v_add_f64 v[12:13], v[16:17], v[12:13]
	v_fma_f64 v[16:17], s[44:45], v[154:155], v[170:171]
	v_mul_f64 v[140:141], v[118:119], s[46:47]
	v_add_f64 v[14:15], v[16:17], v[14:15]
	v_fma_f64 v[16:17], v[156:157], s[2:3], -v[140:141]
	;; [unrolled: 6-line block ×4, first 2 shown]
	v_mul_f64 v[188:189], v[246:247], s[30:31]
	s_mov_b32 s53, 0x3fe9895b
	s_mov_b32 s52, s26
	v_add_f64 v[12:13], v[16:17], v[12:13]
	v_fma_f64 v[16:17], s[28:29], v[176:177], v[188:189]
	v_mul_f64 v[172:173], v[128:129], s[52:53]
	v_add_f64 v[14:15], v[16:17], v[14:15]
	v_fma_f64 v[16:17], v[178:179], s[24:25], -v[172:173]
	v_mul_f64 v[190:191], v[124:125], s[24:25]
	v_add_f64 v[12:13], v[16:17], v[12:13]
	v_fma_f64 v[16:17], s[52:53], v[180:181], v[190:191]
	v_mul_f64 v[184:185], v[158:159], s[50:51]
	v_add_f64 v[14:15], v[16:17], v[14:15]
	v_fma_f64 v[16:17], v[194:195], s[6:7], -v[184:185]
	v_mul_f64 v[192:193], v[152:153], s[6:7]
	;; [unrolled: 6-line block ×3, first 2 shown]
	v_add_f64 v[16:17], v[28:29], v[16:17]
	v_fma_f64 v[18:19], v[142:143], s[30:31], -v[198:199]
	v_mul_f64 v[206:207], v[108:109], s[20:21]
	v_add_f64 v[16:17], v[18:19], v[16:17]
	v_fma_f64 v[18:19], s[22:23], v[136:137], v[206:207]
	v_mul_f64 v[88:89], v[110:111], s[30:31]
	v_add_f64 v[18:19], v[30:31], v[18:19]
	v_fma_f64 v[90:91], s[34:35], v[144:145], v[88:89]
	v_mul_f64 v[202:203], v[114:115], s[50:51]
	v_add_f64 v[18:19], v[90:91], v[18:19]
	v_fma_f64 v[90:91], v[150:151], s[6:7], -v[202:203]
	v_mul_f64 v[210:211], v[112:113], s[6:7]
	v_add_f64 v[16:17], v[90:91], v[16:17]
	v_fma_f64 v[90:91], s[50:51], v[154:155], v[210:211]
	v_mul_f64 v[204:205], v[118:119], s[14:15]
	v_add_f64 v[18:19], v[90:91], v[18:19]
	v_fma_f64 v[90:91], v[156:157], s[8:9], -v[204:205]
	;; [unrolled: 6-line block ×3, first 2 shown]
	v_mul_f64 v[218:219], v[220:221], s[36:37]
	v_add_f64 v[16:17], v[90:91], v[16:17]
	v_fma_f64 v[90:91], s[38:39], v[166:167], v[218:219]
	s_mov_b32 s55, 0x3fefdd0d
	s_mov_b32 s54, s18
	v_add_f64 v[18:19], v[90:91], v[18:19]
	v_mul_f64 v[90:91], v[250:251], s[54:55]
	v_fma_f64 v[92:93], v[174:175], s[16:17], -v[90:91]
	v_add_f64 v[16:17], v[92:93], v[16:17]
	v_mul_f64 v[92:93], v[246:247], s[16:17]
	v_fma_f64 v[94:95], s[54:55], v[176:177], v[92:93]
	v_mul_f64 v[212:213], v[128:129], s[10:11]
	v_add_f64 v[18:19], v[94:95], v[18:19]
	v_fma_f64 v[94:95], v[178:179], s[2:3], -v[212:213]
	v_add_f64 v[16:17], v[94:95], v[16:17]
	v_mul_f64 v[94:95], v[124:125], s[2:3]
	v_fma_f64 v[96:97], s[10:11], v[180:181], v[94:95]
	v_mul_f64 v[216:217], v[158:159], s[26:27]
	v_add_f64 v[18:19], v[96:97], v[18:19]
	v_fma_f64 v[96:97], v[194:195], s[24:25], -v[216:217]
	v_mul_f64 v[222:223], v[152:153], s[24:25]
	v_add_f64 v[16:17], v[96:97], v[16:17]
	v_fma_f64 v[96:97], s[26:27], v[200:201], v[222:223]
	s_movk_i32 s33, 0x78
	v_add_f64 v[18:19], v[96:97], v[18:19]
	v_cmp_gt_u32_e32 vcc, s33, v122
	s_barrier
	s_and_saveexec_b64 s[40:41], vcc
	s_cbranch_execz .LBB0_13
; %bb.12:
	v_mul_f64 v[96:97], v[136:137], s[38:39]
	v_accvgpr_write_b32 a66, v98
	v_accvgpr_write_b32 a78, v100
	;; [unrolled: 1-line block ×3, first 2 shown]
	v_fma_f64 v[98:99], s[36:37], v[108:109], v[96:97]
	v_accvgpr_write_b32 a79, v101
	v_mul_f64 v[100:101], v[144:145], s[46:47]
	v_accvgpr_write_b32 a68, v102
	v_add_f64 v[98:99], v[30:31], v[98:99]
	v_accvgpr_write_b32 a69, v103
	v_fma_f64 v[102:103], s[2:3], v[110:111], v[100:101]
	v_add_f64 v[98:99], v[102:103], v[98:99]
	v_mul_f64 v[102:103], v[154:155], s[28:29]
	v_accvgpr_write_b32 a0, v228
	v_accvgpr_write_b32 a1, v229
	v_fma_f64 v[228:229], s[30:31], v[112:113], v[102:103]
	v_add_f64 v[98:99], v[228:229], v[98:99]
	v_mul_f64 v[228:229], v[160:161], s[50:51]
	v_accvgpr_write_b32 a70, v230
	;; [unrolled: 5-line block ×6, first 2 shown]
	v_accvgpr_write_b32 a96, v240
	v_accvgpr_write_b32 a89, v239
	v_fma_f64 v[238:239], v[134:135], s[36:37], -v[236:237]
	v_accvgpr_write_b32 a97, v241
	v_mul_f64 v[240:241], v[106:107], s[46:47]
	v_accvgpr_write_b32 a90, v242
	v_add_f64 v[238:239], v[28:29], v[238:239]
	v_accvgpr_write_b32 a91, v243
	v_fma_f64 v[242:243], v[142:143], s[2:3], -v[240:241]
	v_add_f64 v[238:239], v[242:243], v[238:239]
	v_mul_f64 v[242:243], v[114:115], s[28:29]
	v_accvgpr_write_b32 a98, v244
	v_fma_f64 v[96:97], v[108:109], s[36:37], -v[96:97]
	v_accvgpr_write_b32 a99, v245
	v_fma_f64 v[244:245], v[150:151], s[30:31], -v[242:243]
	v_fma_f64 v[100:101], v[110:111], s[2:3], -v[100:101]
	v_add_f64 v[96:97], v[30:31], v[96:97]
	v_add_f64 v[238:239], v[244:245], v[238:239]
	v_mul_f64 v[244:245], v[118:119], s[50:51]
	v_accvgpr_write_b32 a92, v248
	v_add_f64 v[96:97], v[100:101], v[96:97]
	v_fma_f64 v[100:101], v[112:113], s[30:31], -v[102:103]
	v_accvgpr_write_b32 a93, v249
	v_fma_f64 v[248:249], v[156:157], s[6:7], -v[244:245]
	v_add_f64 v[96:97], v[100:101], v[96:97]
	v_fma_f64 v[100:101], v[116:117], s[6:7], -v[228:229]
	v_add_f64 v[238:239], v[248:249], v[238:239]
	v_mul_f64 v[248:249], v[224:225], s[26:27]
	v_accvgpr_write_b32 a102, v252
	v_add_f64 v[96:97], v[100:101], v[96:97]
	v_fma_f64 v[100:101], v[220:221], s[24:25], -v[230:231]
	v_accvgpr_write_b32 a103, v253
	v_fma_f64 v[252:253], v[164:165], s[24:25], -v[248:249]
	v_add_f64 v[96:97], v[100:101], v[96:97]
	v_fma_f64 v[100:101], v[246:247], s[8:9], -v[232:233]
	v_add_f64 v[238:239], v[252:253], v[238:239]
	v_mul_f64 v[252:253], v[250:251], s[42:43]
	v_accvgpr_write_b32 a104, v254
	v_add_f64 v[96:97], v[100:101], v[96:97]
	v_fma_f64 v[100:101], v[124:125], s[20:21], -v[234:235]
	v_fmac_f64_e32 v[236:237], s[36:37], v[134:135]
	v_accvgpr_write_b32 a105, v255
	v_fma_f64 v[254:255], v[174:175], s[8:9], -v[252:253]
	v_add_f64 v[96:97], v[100:101], v[96:97]
	v_fmac_f64_e32 v[240:241], s[2:3], v[142:143]
	v_add_f64 v[100:101], v[28:29], v[236:237]
	v_add_f64 v[238:239], v[254:255], v[238:239]
	v_mul_f64 v[254:255], v[128:129], s[22:23]
	v_accvgpr_write_b32 a100, v120
	v_add_f64 v[100:101], v[240:241], v[100:101]
	v_fmac_f64_e32 v[242:243], s[30:31], v[150:151]
	v_accvgpr_write_b32 a101, v121
	v_fma_f64 v[120:121], v[178:179], s[20:21], -v[254:255]
	v_add_f64 v[100:101], v[242:243], v[100:101]
	v_fmac_f64_e32 v[244:245], s[6:7], v[156:157]
	v_add_f64 v[120:121], v[120:121], v[238:239]
	v_mul_f64 v[238:239], v[200:201], s[54:55]
	v_accvgpr_write_b32 a94, v126
	v_add_f64 v[100:101], v[244:245], v[100:101]
	v_fmac_f64_e32 v[248:249], s[24:25], v[164:165]
	v_accvgpr_write_b32 a95, v127
	v_fma_f64 v[126:127], s[16:17], v[152:153], v[238:239]
	v_accvgpr_write_b32 a106, v132
	v_add_f64 v[100:101], v[248:249], v[100:101]
	v_fmac_f64_e32 v[252:253], s[8:9], v[174:175]
	v_accvgpr_write_b32 a107, v133
	v_add_f64 v[132:133], v[126:127], v[98:99]
	v_mul_f64 v[98:99], v[158:159], s[54:55]
	v_add_f64 v[100:101], v[252:253], v[100:101]
	v_fmac_f64_e32 v[254:255], s[20:21], v[178:179]
	v_fma_f64 v[126:127], v[194:195], s[16:17], -v[98:99]
	v_add_f64 v[100:101], v[254:255], v[100:101]
	v_fmac_f64_e32 v[98:99], s[16:17], v[194:195]
	v_fma_f64 v[102:103], v[152:153], s[16:17], -v[238:239]
	v_add_f64 v[100:101], v[98:99], v[100:101]
	v_add_f64 v[102:103], v[102:103], v[96:97]
	v_accvgpr_write_b32 a80, v100
	v_accvgpr_write_b32 a81, v101
	;; [unrolled: 1-line block ×4, first 2 shown]
	v_mul_f64 v[100:101], v[136:137], s[28:29]
	v_accvgpr_write_b32 a108, v130
	v_fma_f64 v[96:97], s[30:31], v[108:109], v[100:101]
	v_mul_f64 v[102:103], v[144:145], s[42:43]
	v_accvgpr_write_b32 a109, v131
	v_add_f64 v[130:131], v[126:127], v[120:121]
	v_add_f64 v[96:97], v[30:31], v[96:97]
	v_fma_f64 v[98:99], s[8:9], v[110:111], v[102:103]
	v_mul_f64 v[120:121], v[154:155], s[18:19]
	v_add_f64 v[96:97], v[98:99], v[96:97]
	v_fma_f64 v[98:99], s[16:17], v[112:113], v[120:121]
	v_mul_f64 v[126:127], v[160:161], s[52:53]
	;; [unrolled: 3-line block ×6, first 2 shown]
	v_add_f64 v[96:97], v[98:99], v[96:97]
	v_fma_f64 v[98:99], v[134:135], s[30:31], -v[234:235]
	v_mul_f64 v[236:237], v[106:107], s[42:43]
	v_fma_f64 v[100:101], v[108:109], s[30:31], -v[100:101]
	v_add_f64 v[98:99], v[28:29], v[98:99]
	v_fma_f64 v[238:239], v[142:143], s[8:9], -v[236:237]
	v_fma_f64 v[102:103], v[110:111], s[8:9], -v[102:103]
	v_add_f64 v[100:101], v[30:31], v[100:101]
	v_add_f64 v[98:99], v[238:239], v[98:99]
	v_mul_f64 v[238:239], v[114:115], s[18:19]
	v_add_f64 v[100:101], v[102:103], v[100:101]
	v_fma_f64 v[102:103], v[112:113], s[16:17], -v[120:121]
	v_fma_f64 v[240:241], v[150:151], s[16:17], -v[238:239]
	v_add_f64 v[100:101], v[102:103], v[100:101]
	v_fma_f64 v[102:103], v[116:117], s[24:25], -v[126:127]
	v_add_f64 v[98:99], v[240:241], v[98:99]
	v_mul_f64 v[240:241], v[118:119], s[52:53]
	v_add_f64 v[100:101], v[102:103], v[100:101]
	v_fma_f64 v[102:103], v[220:221], s[2:3], -v[228:229]
	v_fma_f64 v[242:243], v[156:157], s[24:25], -v[240:241]
	v_add_f64 v[100:101], v[102:103], v[100:101]
	v_fma_f64 v[102:103], v[246:247], s[36:37], -v[230:231]
	v_add_f64 v[98:99], v[242:243], v[98:99]
	v_mul_f64 v[242:243], v[224:225], s[10:11]
	v_add_f64 v[100:101], v[102:103], v[100:101]
	v_fma_f64 v[102:103], v[124:125], s[6:7], -v[232:233]
	v_fmac_f64_e32 v[234:235], s[30:31], v[134:135]
	v_fma_f64 v[244:245], v[164:165], s[2:3], -v[242:243]
	v_add_f64 v[100:101], v[102:103], v[100:101]
	v_fmac_f64_e32 v[236:237], s[8:9], v[142:143]
	v_add_f64 v[102:103], v[28:29], v[234:235]
	v_add_f64 v[98:99], v[244:245], v[98:99]
	v_mul_f64 v[244:245], v[250:251], s[38:39]
	v_add_f64 v[102:103], v[236:237], v[102:103]
	v_fmac_f64_e32 v[238:239], s[16:17], v[150:151]
	v_fma_f64 v[248:249], v[174:175], s[36:37], -v[244:245]
	v_add_f64 v[102:103], v[238:239], v[102:103]
	v_fmac_f64_e32 v[240:241], s[24:25], v[156:157]
	v_add_f64 v[98:99], v[248:249], v[98:99]
	v_mul_f64 v[248:249], v[128:129], s[50:51]
	v_add_f64 v[102:103], v[240:241], v[102:103]
	v_fmac_f64_e32 v[242:243], s[2:3], v[164:165]
	v_accvgpr_write_b32 a56, v130
	v_fma_f64 v[252:253], v[178:179], s[6:7], -v[248:249]
	v_mul_f64 v[254:255], v[200:201], s[22:23]
	v_add_f64 v[102:103], v[242:243], v[102:103]
	v_fmac_f64_e32 v[244:245], s[36:37], v[174:175]
	v_accvgpr_write_b32 a57, v131
	v_accvgpr_write_b32 a58, v132
	;; [unrolled: 1-line block ×3, first 2 shown]
	v_add_f64 v[252:253], v[252:253], v[98:99]
	v_fma_f64 v[98:99], s[20:21], v[152:153], v[254:255]
	v_mul_f64 v[130:131], v[158:159], s[22:23]
	v_add_f64 v[102:103], v[244:245], v[102:103]
	v_fmac_f64_e32 v[248:249], s[6:7], v[178:179]
	v_add_f64 v[98:99], v[98:99], v[96:97]
	v_fma_f64 v[96:97], v[194:195], s[20:21], -v[130:131]
	v_add_f64 v[120:121], v[248:249], v[102:103]
	v_fma_f64 v[102:103], v[152:153], s[20:21], -v[254:255]
	v_fmac_f64_e32 v[130:131], s[20:21], v[194:195]
	v_add_f64 v[102:103], v[102:103], v[100:101]
	v_add_f64 v[100:101], v[130:131], v[120:121]
	v_mul_f64 v[120:121], v[136:137], s[26:27]
	v_fma_f64 v[126:127], s[24:25], v[108:109], v[120:121]
	v_mul_f64 v[130:131], v[144:145], s[44:45]
	v_add_f64 v[126:127], v[30:31], v[126:127]
	v_fma_f64 v[228:229], s[20:21], v[110:111], v[130:131]
	v_add_f64 v[126:127], v[228:229], v[126:127]
	v_mul_f64 v[228:229], v[154:155], s[10:11]
	v_fma_f64 v[230:231], s[2:3], v[112:113], v[228:229]
	v_add_f64 v[126:127], v[230:231], v[126:127]
	v_mul_f64 v[230:231], v[160:161], s[28:29]
	;; [unrolled: 3-line block ×5, first 2 shown]
	v_fma_f64 v[238:239], s[36:37], v[124:125], v[236:237]
	v_mul_f64 v[240:241], v[104:105], s[26:27]
	v_add_f64 v[126:127], v[238:239], v[126:127]
	v_mul_f64 v[238:239], v[106:107], s[44:45]
	v_fma_f64 v[104:105], v[134:135], s[24:25], -v[240:241]
	v_add_f64 v[104:105], v[28:29], v[104:105]
	v_fma_f64 v[106:107], v[142:143], s[20:21], -v[238:239]
	v_mul_f64 v[114:115], v[114:115], s[10:11]
	v_add_f64 v[104:105], v[106:107], v[104:105]
	v_fma_f64 v[106:107], v[150:151], s[2:3], -v[114:115]
	v_mul_f64 v[118:119], v[118:119], s[28:29]
	;; [unrolled: 3-line block ×5, first 2 shown]
	v_fma_f64 v[108:109], v[108:109], s[24:25], -v[120:121]
	v_add_f64 v[104:105], v[106:107], v[104:105]
	v_fma_f64 v[106:107], v[178:179], s[36:37], -v[128:129]
	v_mul_f64 v[244:245], v[200:201], s[42:43]
	v_fma_f64 v[110:111], v[110:111], s[20:21], -v[130:131]
	v_add_f64 v[108:109], v[30:31], v[108:109]
	v_add_f64 v[104:105], v[106:107], v[104:105]
	v_fma_f64 v[106:107], s[8:9], v[152:153], v[244:245]
	v_fma_f64 v[112:113], v[112:113], s[2:3], -v[228:229]
	v_add_f64 v[108:109], v[110:111], v[108:109]
	v_fmac_f64_e32 v[240:241], s[24:25], v[134:135]
	v_add_f64 v[106:107], v[106:107], v[126:127]
	v_mul_f64 v[126:127], v[158:159], s[42:43]
	v_fma_f64 v[116:117], v[116:117], s[30:31], -v[230:231]
	v_add_f64 v[108:109], v[112:113], v[108:109]
	v_fmac_f64_e32 v[238:239], s[20:21], v[142:143]
	v_add_f64 v[110:111], v[28:29], v[240:241]
	v_mul_f64 v[120:121], v[144:145], s[34:35]
	v_fma_f64 v[158:159], v[194:195], s[8:9], -v[126:127]
	v_fma_f64 v[220:221], v[220:221], s[16:17], -v[232:233]
	v_add_f64 v[108:109], v[116:117], v[108:109]
	v_add_f64 v[110:111], v[238:239], v[110:111]
	v_fmac_f64_e32 v[114:115], s[2:3], v[150:151]
	v_add_f64 v[88:89], v[88:89], -v[120:121]
	v_mul_f64 v[120:121], v[136:137], s[22:23]
	v_add_f64 v[104:105], v[158:159], v[104:105]
	v_fma_f64 v[158:159], v[246:247], s[6:7], -v[234:235]
	v_add_f64 v[108:109], v[220:221], v[108:109]
	v_add_f64 v[110:111], v[114:115], v[110:111]
	v_fmac_f64_e32 v[118:119], s[30:31], v[156:157]
	v_add_f64 v[120:121], v[206:207], -v[120:121]
	v_fma_f64 v[124:125], v[124:125], s[36:37], -v[236:237]
	v_add_f64 v[108:109], v[158:159], v[108:109]
	v_add_f64 v[110:111], v[118:119], v[110:111]
	v_mul_f64 v[114:115], v[180:181], s[10:11]
	v_mul_f64 v[118:119], v[154:155], s[50:51]
	v_add_f64 v[120:121], v[30:31], v[120:121]
	v_add_f64 v[108:109], v[124:125], v[108:109]
	v_fmac_f64_e32 v[224:225], s[16:17], v[164:165]
	v_add_f64 v[94:95], v[94:95], -v[114:115]
	v_mul_f64 v[114:115], v[176:177], s[54:55]
	v_mul_f64 v[116:117], v[160:161], s[14:15]
	v_add_f64 v[118:119], v[210:211], -v[118:119]
	v_add_f64 v[88:89], v[88:89], v[120:121]
	v_mul_f64 v[124:125], v[134:135], s[20:21]
	v_add_f64 v[110:111], v[224:225], v[110:111]
	v_fmac_f64_e32 v[242:243], s[6:7], v[174:175]
	v_add_f64 v[92:93], v[92:93], -v[114:115]
	v_mul_f64 v[114:115], v[166:167], s[38:39]
	v_add_f64 v[116:117], v[214:215], -v[116:117]
	v_add_f64 v[88:89], v[118:119], v[88:89]
	v_mul_f64 v[120:121], v[142:143], s[30:31]
	v_add_f64 v[124:125], v[124:125], v[196:197]
	v_add_f64 v[110:111], v[242:243], v[110:111]
	v_fmac_f64_e32 v[128:129], s[36:37], v[178:179]
	v_add_f64 v[114:115], v[218:219], -v[114:115]
	v_add_f64 v[88:89], v[116:117], v[88:89]
	v_mul_f64 v[118:119], v[150:151], s[6:7]
	v_add_f64 v[120:121], v[120:121], v[198:199]
	v_add_f64 v[124:125], v[28:29], v[124:125]
	v_fma_f64 v[152:153], v[152:153], s[8:9], -v[244:245]
	v_add_f64 v[112:113], v[128:129], v[110:111]
	v_fmac_f64_e32 v[126:127], s[8:9], v[194:195]
	v_add_f64 v[88:89], v[114:115], v[88:89]
	v_mul_f64 v[114:115], v[174:175], s[16:17]
	v_mul_f64 v[116:117], v[156:157], s[8:9]
	v_add_f64 v[118:119], v[118:119], v[202:203]
	v_add_f64 v[120:121], v[120:121], v[124:125]
	v_accvgpr_read_b32 v129, a75
	v_add_f64 v[110:111], v[152:153], v[108:109]
	v_add_f64 v[108:109], v[126:127], v[112:113]
	;; [unrolled: 1-line block ×3, first 2 shown]
	v_mul_f64 v[114:115], v[164:165], s[36:37]
	v_add_f64 v[116:117], v[116:117], v[204:205]
	v_add_f64 v[118:119], v[118:119], v[120:121]
	v_mul_f64 v[124:125], v[136:137], s[18:19]
	v_mul_f64 v[126:127], v[142:143], s[36:37]
	v_accvgpr_read_b32 v128, a74
	v_accvgpr_read_b32 v131, a73
	v_add_f64 v[88:89], v[92:93], v[88:89]
	v_add_f64 v[114:115], v[114:115], v[208:209]
	v_add_f64 v[116:117], v[116:117], v[118:119]
	v_mul_f64 v[120:121], v[144:145], s[38:39]
	v_add_f64 v[124:125], v[146:147], -v[124:125]
	v_add_f64 v[126:127], v[126:127], v[128:129]
	v_mul_f64 v[128:129], v[134:135], s[16:17]
	v_accvgpr_read_b32 v130, a72
	v_add_f64 v[88:89], v[94:95], v[88:89]
	v_mul_f64 v[94:95], v[178:179], s[2:3]
	v_add_f64 v[114:115], v[114:115], v[116:117]
	v_mul_f64 v[118:119], v[154:155], s[44:45]
	v_add_f64 v[120:121], v[162:163], -v[120:121]
	v_add_f64 v[124:125], v[30:31], v[124:125]
	v_add_f64 v[128:129], v[128:129], v[130:131]
	v_mul_f64 v[112:113], v[200:201], s[26:27]
	v_mul_f64 v[92:93], v[194:195], s[24:25]
	v_add_f64 v[94:95], v[94:95], v[212:213]
	v_add_f64 v[90:91], v[90:91], v[114:115]
	v_mul_f64 v[116:117], v[160:161], s[46:47]
	v_add_f64 v[118:119], v[170:171], -v[118:119]
	v_add_f64 v[120:121], v[120:121], v[124:125]
	v_mul_f64 v[124:125], v[150:151], s[20:21]
	v_add_f64 v[128:129], v[28:29], v[128:129]
	v_add_f64 v[112:113], v[222:223], -v[112:113]
	v_add_f64 v[92:93], v[92:93], v[216:217]
	v_add_f64 v[90:91], v[94:95], v[90:91]
	v_mul_f64 v[94:95], v[166:167], s[14:15]
	v_add_f64 v[116:117], v[182:183], -v[116:117]
	v_add_f64 v[118:119], v[118:119], v[120:121]
	v_mul_f64 v[120:121], v[156:157], s[2:3]
	v_add_f64 v[124:125], v[124:125], v[138:139]
	v_add_f64 v[126:127], v[126:127], v[128:129]
	v_add_f64 v[114:115], v[112:113], v[88:89]
	v_add_f64 v[112:113], v[92:93], v[90:91]
	v_mul_f64 v[92:93], v[176:177], s[28:29]
	v_add_f64 v[94:95], v[186:187], -v[94:95]
	v_add_f64 v[116:117], v[116:117], v[118:119]
	v_mul_f64 v[118:119], v[164:165], s[8:9]
	v_add_f64 v[120:121], v[120:121], v[140:141]
	v_add_f64 v[124:125], v[124:125], v[126:127]
	v_mul_f64 v[90:91], v[180:181], s[52:53]
	v_add_f64 v[92:93], v[188:189], -v[92:93]
	v_add_f64 v[94:95], v[94:95], v[116:117]
	v_mul_f64 v[116:117], v[174:175], s[30:31]
	v_add_f64 v[118:119], v[118:119], v[148:149]
	v_add_f64 v[120:121], v[120:121], v[124:125]
	;; [unrolled: 6-line block ×3, first 2 shown]
	v_add_f64 v[88:89], v[192:193], -v[88:89]
	v_add_f64 v[90:91], v[90:91], v[92:93]
	v_mul_f64 v[92:93], v[194:195], s[6:7]
	v_add_f64 v[94:95], v[94:95], v[172:173]
	v_add_f64 v[116:117], v[116:117], v[118:119]
	;; [unrolled: 1-line block ×5, first 2 shown]
	v_accvgpr_read_b32 v91, a65
	v_add_f64 v[116:117], v[92:93], v[94:95]
	v_mul_f64 v[88:89], v[200:201], s[28:29]
	v_accvgpr_read_b32 v90, a64
	v_accvgpr_read_b32 v93, a63
	v_add_f64 v[88:89], v[90:91], -v[88:89]
	v_mul_f64 v[90:91], v[180:181], s[18:19]
	v_accvgpr_read_b32 v92, a62
	v_accvgpr_read_b32 v94, a106
	v_add_f64 v[90:91], v[92:93], -v[90:91]
	;; [unrolled: 4-line block ×7, first 2 shown]
	v_mul_f64 v[128:129], v[136:137], s[14:15]
	v_accvgpr_read_b32 v130, a44
	v_add_f64 v[128:129], v[130:131], -v[128:129]
	v_add_f64 v[128:129], v[30:31], v[128:129]
	v_add_f64 v[126:127], v[126:127], v[128:129]
	;; [unrolled: 1-line block ×6, first 2 shown]
	v_accvgpr_read_b32 v95, a51
	v_mul_f64 v[126:127], v[136:137], s[10:11]
	v_mul_f64 v[130:131], v[136:137], s[12:13]
	v_add_f64 v[90:91], v[90:91], v[92:93]
	v_mul_f64 v[92:93], v[194:195], s[30:31]
	v_accvgpr_read_b32 v94, a50
	v_accvgpr_read_b32 v137, a47
	v_add_f64 v[92:93], v[92:93], v[94:95]
	v_mul_f64 v[94:95], v[178:179], s[16:17]
	v_accvgpr_read_b32 v136, a46
	v_accvgpr_read_b32 v139, a43
	;; [unrolled: 4-line block ×5, first 2 shown]
	v_accvgpr_read_b32 v159, a33
	v_mul_f64 v[132:133], v[134:135], s[8:9]
	v_add_f64 v[140:141], v[140:141], v[146:147]
	v_mul_f64 v[146:147], v[150:151], s[36:37]
	v_accvgpr_read_b32 v148, a36
	v_accvgpr_read_b32 v153, a35
	;; [unrolled: 1-line block ×3, first 2 shown]
	v_mul_f64 v[120:121], v[142:143], s[6:7]
	v_add_f64 v[146:147], v[146:147], v[148:149]
	v_mul_f64 v[148:149], v[142:143], s[16:17]
	v_mul_f64 v[142:143], v[142:143], s[24:25]
	v_accvgpr_read_b32 v152, a34
	v_add_f64 v[132:133], v[132:133], v[158:159]
	v_add_f64 v[142:143], v[142:143], v[152:153]
	;; [unrolled: 1-line block ×3, first 2 shown]
	v_accvgpr_read_b32 v183, a27
	v_add_f64 v[132:133], v[142:143], v[132:133]
	v_mul_f64 v[168:169], v[176:177], s[44:45]
	v_accvgpr_read_b32 v182, a26
	v_add_f64 v[132:133], v[146:147], v[132:133]
	v_add_f64 v[168:169], v[182:183], -v[168:169]
	v_accvgpr_read_b32 v183, a23
	v_add_f64 v[132:133], v[140:141], v[132:133]
	v_mul_f64 v[140:141], v[164:165], s[20:21]
	v_mul_f64 v[162:163], v[164:165], s[30:31]
	;; [unrolled: 1-line block ×3, first 2 shown]
	v_accvgpr_read_b32 v182, a22
	v_add_f64 v[164:165], v[182:183], -v[164:165]
	v_accvgpr_read_b32 v183, a19
	v_mul_f64 v[146:147], v[160:161], s[18:19]
	v_mul_f64 v[160:161], v[160:161], s[38:39]
	v_accvgpr_read_b32 v182, a18
	v_add_f64 v[160:161], v[182:183], -v[160:161]
	v_accvgpr_read_b32 v183, a15
	v_mul_f64 v[158:159], v[154:155], s[14:15]
	v_mul_f64 v[154:155], v[154:155], s[26:27]
	;; [unrolled: 5-line block ×3, first 2 shown]
	v_mul_f64 v[134:135], v[144:145], s[12:13]
	v_mul_f64 v[144:145], v[144:145], s[18:19]
	v_accvgpr_read_b32 v182, a10
	v_add_f64 v[144:145], v[182:183], -v[144:145]
	v_accvgpr_read_b32 v183, a9
	v_accvgpr_read_b32 v182, a8
	v_add_f64 v[130:131], v[182:183], -v[130:131]
	v_add_f64 v[130:131], v[30:31], v[130:131]
	v_add_f64 v[130:131], v[144:145], v[130:131]
	v_add_f64 v[130:131], v[154:155], v[130:131]
	v_add_f64 v[130:131], v[160:161], v[130:131]
	v_accvgpr_read_b32 v161, a7
	v_mul_f64 v[142:143], v[156:157], s[16:17]
	v_mul_f64 v[156:157], v[156:157], s[36:37]
	v_accvgpr_read_b32 v160, a6
	v_add_f64 v[156:157], v[156:157], v[160:161]
	v_accvgpr_read_b32 v161, a5
	v_mul_f64 v[152:153], v[150:151], s[8:9]
	v_mul_f64 v[150:151], v[150:151], s[24:25]
	v_accvgpr_read_b32 v160, a4
	v_add_f64 v[150:151], v[150:151], v[160:161]
	v_accvgpr_read_b32 v161, a3
	v_accvgpr_read_b32 v160, a2
	v_add_f64 v[148:149], v[148:149], v[160:161]
	v_accvgpr_read_b32 v161, a105
	v_accvgpr_read_b32 v160, a104
	v_add_f64 v[124:125], v[124:125], v[160:161]
	v_add_f64 v[124:125], v[28:29], v[124:125]
	v_accvgpr_read_b32 v155, a13
	v_add_f64 v[124:125], v[148:149], v[124:125]
	v_accvgpr_read_b32 v145, a17
	v_accvgpr_read_b32 v154, a12
	v_add_f64 v[124:125], v[150:151], v[124:125]
	v_add_f64 v[132:133], v[138:139], v[132:133]
	v_mul_f64 v[138:139], v[166:167], s[22:23]
	v_mul_f64 v[166:167], v[174:175], s[20:21]
	v_accvgpr_read_b32 v144, a16
	v_add_f64 v[154:155], v[162:163], v[154:155]
	v_add_f64 v[124:125], v[156:157], v[124:125]
	;; [unrolled: 1-line block ×6, first 2 shown]
	v_accvgpr_read_b32 v145, a97
	v_add_f64 v[94:95], v[94:95], v[132:133]
	v_mul_f64 v[132:133], v[176:177], s[26:27]
	v_accvgpr_read_b32 v144, a96
	v_accvgpr_read_b32 v149, a101
	v_add_f64 v[132:133], v[144:145], -v[132:133]
	v_accvgpr_read_b32 v145, a87
	v_accvgpr_read_b32 v148, a100
	;; [unrolled: 1-line block ×3, first 2 shown]
	v_add_f64 v[134:135], v[148:149], -v[134:135]
	v_accvgpr_read_b32 v149, a79
	v_add_f64 v[138:139], v[144:145], -v[138:139]
	v_accvgpr_read_b32 v145, a85
	v_accvgpr_read_b32 v148, a78
	;; [unrolled: 1-line block ×3, first 2 shown]
	v_add_f64 v[126:127], v[148:149], -v[126:127]
	v_add_f64 v[26:27], v[30:31], v[26:27]
	v_add_f64 v[24:25], v[28:29], v[24:25]
	v_add_f64 v[144:145], v[144:145], -v[146:147]
	v_accvgpr_read_b32 v147, a61
	v_add_f64 v[126:127], v[30:31], v[126:127]
	v_add_f64 v[26:27], v[26:27], v[34:35]
	;; [unrolled: 1-line block ×5, first 2 shown]
	v_accvgpr_read_b32 v95, a31
	v_accvgpr_read_b32 v146, a60
	v_add_f64 v[126:127], v[134:135], v[126:127]
	v_accvgpr_read_b32 v135, a77
	v_add_f64 v[26:27], v[26:27], v[38:39]
	v_add_f64 v[24:25], v[24:25], v[36:37]
	v_mul_f64 v[92:93], v[200:201], s[46:47]
	v_accvgpr_read_b32 v94, a30
	v_accvgpr_read_b32 v177, a29
	v_add_f64 v[146:147], v[146:147], -v[158:159]
	v_accvgpr_read_b32 v134, a76
	v_add_f64 v[26:27], v[26:27], v[54:55]
	v_add_f64 v[24:25], v[24:25], v[52:53]
	v_add_f64 v[92:93], v[94:95], -v[92:93]
	v_mul_f64 v[94:95], v[180:181], s[42:43]
	v_accvgpr_read_b32 v176, a28
	v_add_f64 v[130:131], v[164:165], v[130:131]
	v_add_f64 v[126:127], v[146:147], v[126:127]
	v_add_f64 v[134:135], v[140:141], v[134:135]
	v_accvgpr_read_b32 v141, a69
	v_add_f64 v[26:27], v[26:27], v[58:59]
	v_add_f64 v[24:25], v[24:25], v[56:57]
	v_add_f64 v[94:95], v[176:177], -v[94:95]
	v_add_f64 v[130:131], v[168:169], v[130:131]
	v_add_f64 v[126:127], v[144:145], v[126:127]
	v_accvgpr_read_b32 v140, a68
	v_add_f64 v[26:27], v[26:27], v[70:71]
	v_add_f64 v[24:25], v[24:25], v[68:69]
	v_add_f64 v[94:95], v[94:95], v[130:131]
	v_accvgpr_read_b32 v131, a21
	v_add_f64 v[126:127], v[138:139], v[126:127]
	v_add_f64 v[120:121], v[120:121], v[140:141]
	v_accvgpr_read_b32 v141, a67
	v_add_f64 v[26:27], v[26:27], v[74:75]
	v_add_f64 v[24:25], v[24:25], v[72:73]
	v_mul_f64 v[136:137], v[174:175], s[24:25]
	v_mul_f64 v[174:175], v[178:179], s[8:9]
	v_add_f64 v[94:95], v[92:93], v[94:95]
	v_accvgpr_read_b32 v93, a25
	v_accvgpr_read_b32 v130, a20
	v_add_f64 v[126:127], v[132:133], v[126:127]
	v_accvgpr_read_b32 v133, a89
	v_accvgpr_read_b32 v140, a66
	v_add_f64 v[26:27], v[26:27], v[82:83]
	v_add_f64 v[24:25], v[24:25], v[80:81]
	v_mul_f64 v[172:173], v[180:181], s[28:29]
	v_mul_f64 v[180:181], v[194:195], s[2:3]
	v_accvgpr_read_b32 v92, a24
	v_add_f64 v[130:131], v[174:175], v[130:131]
	v_accvgpr_read_b32 v132, a88
	v_accvgpr_read_b32 v139, a95
	v_add_f64 v[128:129], v[128:129], v[140:141]
	v_add_f64 v[26:27], v[26:27], v[86:87]
	;; [unrolled: 1-line block ×5, first 2 shown]
	v_accvgpr_read_b32 v131, a99
	v_add_f64 v[132:133], v[136:137], v[132:133]
	v_accvgpr_read_b32 v137, a71
	v_accvgpr_read_b32 v138, a94
	v_add_f64 v[128:129], v[28:29], v[128:129]
	v_add_f64 v[26:27], v[26:27], v[78:79]
	;; [unrolled: 1-line block ×4, first 2 shown]
	v_accvgpr_read_b32 v125, a103
	v_accvgpr_read_b32 v130, a98
	v_accvgpr_read_b32 v136, a70
	v_add_f64 v[138:139], v[152:153], v[138:139]
	v_add_f64 v[120:121], v[120:121], v[128:129]
	;; [unrolled: 1-line block ×4, first 2 shown]
	v_mul_f64 v[170:171], v[178:179], s[30:31]
	v_mul_f64 v[178:179], v[200:201], s[38:39]
	v_accvgpr_read_b32 v124, a102
	v_add_f64 v[130:131], v[130:131], -v[172:173]
	v_add_f64 v[136:137], v[142:143], v[136:137]
	v_add_f64 v[120:121], v[138:139], v[120:121]
	;; [unrolled: 1-line block ×4, first 2 shown]
	v_add_f64 v[124:125], v[124:125], -v[178:179]
	v_add_f64 v[126:127], v[130:131], v[126:127]
	v_accvgpr_read_b32 v131, a91
	v_add_f64 v[120:121], v[136:137], v[120:121]
	v_add_f64 v[26:27], v[26:27], v[50:51]
	;; [unrolled: 1-line block ×4, first 2 shown]
	v_accvgpr_read_b32 v125, a93
	v_accvgpr_read_b32 v130, a90
	v_add_f64 v[120:121], v[134:135], v[120:121]
	v_add_f64 v[26:27], v[26:27], v[46:47]
	;; [unrolled: 1-line block ×3, first 2 shown]
	v_accvgpr_read_b32 v229, a1
	v_mul_f64 v[176:177], v[194:195], s[36:37]
	v_accvgpr_read_b32 v124, a92
	v_add_f64 v[130:131], v[170:171], v[130:131]
	v_add_f64 v[120:121], v[132:133], v[120:121]
	;; [unrolled: 1-line block ×4, first 2 shown]
	v_accvgpr_read_b32 v228, a0
	v_add_f64 v[124:125], v[176:177], v[124:125]
	v_add_f64 v[120:121], v[130:131], v[120:121]
	;; [unrolled: 1-line block ×4, first 2 shown]
	v_lshl_add_u32 v24, v122, 8, v226
	v_add_f64 v[96:97], v[96:97], v[252:253]
	v_add_f64 v[124:125], v[124:125], v[120:121]
	ds_write_b128 v24, v[20:23]
	ds_write_b128 v24, v[124:127] offset:16
	ds_write_b128 v24, v[92:95] offset:32
	ds_write_b128 v24, v[88:91] offset:48
	ds_write_b128 v24, v[116:119] offset:64
	ds_write_b128 v24, v[112:115] offset:80
	ds_write_b128 v24, v[108:111] offset:96
	ds_write_b128 v24, v[100:103] offset:112
	ds_write_b128 v24, a[80:83] offset:128
	ds_write_b128 v24, a[56:59] offset:144
	ds_write_b128 v24, v[96:99] offset:160
	ds_write_b128 v24, v[104:107] offset:176
	ds_write_b128 v24, v[16:19] offset:192
	ds_write_b128 v24, v[12:15] offset:208
	ds_write_b128 v24, v[8:11] offset:224
	ds_write_b128 v24, v[4:7] offset:240
	ds_write_b128 v24, v[0:3] offset:256
.LBB0_13:
	s_or_b64 exec, exec, s[40:41]
	s_movk_i32 s2, 0xf1
	v_mul_lo_u16_sdwa v20, v122, s2 dst_sel:DWORD dst_unused:UNUSED_PAD src0_sel:BYTE_0 src1_sel:DWORD
	v_add_u32_e32 v81, 0xaa, v122
	v_lshrrev_b16_e32 v83, 12, v20
	s_mov_b32 s2, 0xf0f1
	v_mul_lo_u16_e32 v20, 17, v83
	v_mul_u32_u24_sdwa v124, v81, s2 dst_sel:DWORD dst_unused:UNUSED_PAD src0_sel:WORD_0 src1_sel:DWORD
	v_sub_u16_e32 v123, v122, v20
	v_mov_b32_e32 v20, 3
	v_lshrrev_b32_e32 v125, 20, v124
	v_mul_u32_u24_sdwa v20, v123, v20 dst_sel:DWORD dst_unused:UNUSED_PAD src0_sel:BYTE_0 src1_sel:DWORD
	v_mul_lo_u16_e32 v29, 17, v125
	v_lshlrev_b32_e32 v28, 4, v20
	v_sub_u16_e32 v126, v81, v29
	s_waitcnt lgkmcnt(0)
	s_barrier
	global_load_dwordx4 v[20:23], v28, s[4:5] offset:16
	global_load_dwordx4 v[24:27], v28, s[4:5]
	v_mul_u32_u24_e32 v32, 3, v126
	global_load_dwordx4 v[28:31], v28, s[4:5] offset:32
	v_lshlrev_b32_e32 v44, 4, v32
	global_load_dwordx4 v[32:35], v44, s[4:5]
	global_load_dwordx4 v[36:39], v44, s[4:5] offset:16
	global_load_dwordx4 v[40:43], v44, s[4:5] offset:32
	v_add_u32_e32 v82, 0x154, v122
	v_mul_u32_u24_sdwa v127, v82, s2 dst_sel:DWORD dst_unused:UNUSED_PAD src0_sel:WORD_0 src1_sel:DWORD
	v_lshrrev_b32_e32 v128, 20, v127
	v_mul_lo_u16_e32 v68, 17, v128
	v_sub_u16_e32 v129, v82, v68
	v_add_u32_e32 v80, 0x1fe, v122
	v_mul_u32_u24_e32 v68, 3, v129
	v_lshlrev_b32_e32 v102, 4, v68
	v_lshl_add_u32 v84, v80, 4, 0
	ds_read_b128 v[44:47], v226
	ds_read_b128 v[48:51], v226 offset:2720
	ds_read_b128 v[52:55], v226 offset:16320
	;; [unrolled: 1-line block ×5, first 2 shown]
	global_load_dwordx4 v[68:71], v102, s[4:5] offset:16
	global_load_dwordx4 v[72:75], v102, s[4:5]
	ds_read_b128 v[76:79], v226 offset:24480
	ds_read_b128 v[86:89], v226 offset:21760
	ds_read_b128 v[90:93], v84
	ds_read_b128 v[94:97], v226 offset:27200
	ds_read_b128 v[98:101], v226 offset:29920
	global_load_dwordx4 v[102:105], v102, s[4:5] offset:32
	s_movk_i32 s3, 0x79
	v_lshl_add_u32 v85, v82, 4, 0
	ds_read_b128 v[106:109], v85
	s_waitcnt lgkmcnt(0)
	s_barrier
	s_mov_b32 s7, 0x3febb67a
	s_movk_i32 s8, 0xcc0
	v_cmp_gt_u32_e32 vcc, 34, v122
	s_waitcnt vmcnt(8)
	v_mul_f64 v[112:113], v[54:55], v[22:23]
	s_waitcnt vmcnt(7)
	v_mul_f64 v[110:111], v[92:93], v[26:27]
	v_mul_f64 v[26:27], v[90:91], v[26:27]
	;; [unrolled: 1-line block ×3, first 2 shown]
	s_waitcnt vmcnt(6)
	v_mul_f64 v[114:115], v[78:79], v[30:31]
	v_mul_f64 v[30:31], v[76:77], v[30:31]
	s_waitcnt vmcnt(5)
	v_mul_f64 v[116:117], v[62:63], v[34:35]
	v_mul_f64 v[34:35], v[60:61], v[34:35]
	;; [unrolled: 3-line block ×3, first 2 shown]
	v_fmac_f64_e32 v[110:111], v[90:91], v[24:25]
	v_fma_f64 v[24:25], v[92:93], v[24:25], -v[26:27]
	v_fmac_f64_e32 v[112:113], v[52:53], v[20:21]
	v_fma_f64 v[20:21], v[54:55], v[20:21], -v[22:23]
	;; [unrolled: 2-line block ×3, first 2 shown]
	s_waitcnt vmcnt(3)
	v_mul_f64 v[120:121], v[96:97], v[42:43]
	v_mul_f64 v[42:43], v[94:95], v[42:43]
	v_fmac_f64_e32 v[116:117], v[60:61], v[32:33]
	v_fma_f64 v[52:53], v[62:63], v[32:33], -v[34:35]
	v_fmac_f64_e32 v[118:119], v[56:57], v[36:37]
	v_fma_f64 v[26:27], v[58:59], v[36:37], -v[38:39]
	v_add_f64 v[28:29], v[44:45], -v[112:113]
	v_add_f64 v[30:31], v[46:47], -v[20:21]
	;; [unrolled: 1-line block ×4, first 2 shown]
	v_fmac_f64_e32 v[120:121], v[94:95], v[40:41]
	v_fma_f64 v[36:37], v[96:97], v[40:41], -v[42:43]
	v_add_f64 v[54:55], v[48:49], -v[118:119]
	v_add_f64 v[56:57], v[50:51], -v[26:27]
	v_fma_f64 v[34:35], v[44:45], 2.0, -v[28:29]
	v_fma_f64 v[38:39], v[46:47], 2.0, -v[30:31]
	;; [unrolled: 1-line block ×5, first 2 shown]
	v_add_f64 v[24:25], v[34:35], -v[26:27]
	v_add_f64 v[26:27], v[38:39], -v[40:41]
	;; [unrolled: 1-line block ×3, first 2 shown]
	v_mov_b32_e32 v76, 4
	v_add_f64 v[22:23], v[30:31], -v[32:33]
	v_fma_f64 v[32:33], v[34:35], 2.0, -v[24:25]
	v_fma_f64 v[34:35], v[38:39], 2.0, -v[26:27]
	;; [unrolled: 1-line block ×3, first 2 shown]
	v_mul_u32_u24_e32 v52, 0x440, v83
	v_lshlrev_b32_sdwa v53, v76, v123 dst_sel:DWORD dst_unused:UNUSED_PAD src0_sel:DWORD src1_sel:BYTE_0
	v_add3_u32 v77, 0, v52, v53
	v_mul_u32_u24_e32 v52, 0x440, v125
	v_lshlrev_b32_e32 v53, 4, v126
	v_add_f64 v[46:47], v[116:117], -v[120:121]
	v_add3_u32 v78, 0, v52, v53
	v_mul_lo_u16_sdwa v52, v122, s3 dst_sel:DWORD dst_unused:UNUSED_PAD src0_sel:BYTE_0 src1_sel:DWORD
	v_fma_f64 v[44:45], v[50:51], 2.0, -v[56:57]
	v_fma_f64 v[36:37], v[116:117], 2.0, -v[46:47]
	v_lshrrev_b16_e32 v79, 13, v52
	v_add_f64 v[36:37], v[42:43], -v[36:37]
	v_add_f64 v[38:39], v[44:45], -v[38:39]
	v_mul_lo_u16_e32 v52, 0x44, v79
	v_fma_f64 v[40:41], v[42:43], 2.0, -v[36:37]
	v_fma_f64 v[42:43], v[44:45], 2.0, -v[38:39]
	v_add_f64 v[44:45], v[54:55], v[48:49]
	v_add_f64 v[46:47], v[56:57], -v[46:47]
	v_sub_u16_e32 v83, v122, v52
	v_mov_b32_e32 v52, 5
	v_fma_f64 v[48:49], v[54:55], 2.0, -v[44:45]
	v_fma_f64 v[50:51], v[56:57], 2.0, -v[46:47]
	v_lshlrev_b32_sdwa v90, v52, v83 dst_sel:DWORD dst_unused:UNUSED_PAD src0_sel:DWORD src1_sel:BYTE_0
	s_waitcnt vmcnt(1)
	v_mul_f64 v[52:53], v[66:67], v[74:75]
	v_mul_f64 v[54:55], v[64:65], v[74:75]
	;; [unrolled: 1-line block ×4, first 2 shown]
	s_waitcnt vmcnt(0)
	v_mul_f64 v[60:61], v[100:101], v[104:105]
	v_mul_f64 v[62:63], v[98:99], v[104:105]
	v_add_f64 v[20:21], v[28:29], v[20:21]
	v_fmac_f64_e32 v[52:53], v[64:65], v[72:73]
	v_fma_f64 v[54:55], v[66:67], v[72:73], -v[54:55]
	v_fmac_f64_e32 v[56:57], v[86:87], v[68:69]
	v_fma_f64 v[58:59], v[88:89], v[68:69], -v[58:59]
	;; [unrolled: 2-line block ×3, first 2 shown]
	v_fma_f64 v[28:29], v[28:29], 2.0, -v[20:21]
	v_fma_f64 v[30:31], v[30:31], 2.0, -v[22:23]
	v_add_f64 v[64:65], v[106:107], -v[56:57]
	v_add_f64 v[66:67], v[108:109], -v[58:59]
	;; [unrolled: 1-line block ×4, first 2 shown]
	ds_write_b128 v77, v[32:35]
	ds_write_b128 v77, v[28:31] offset:272
	ds_write_b128 v77, v[24:27] offset:544
	;; [unrolled: 1-line block ×3, first 2 shown]
	ds_write_b128 v78, v[40:43]
	ds_write_b128 v78, v[48:51] offset:272
	ds_write_b128 v78, v[36:39] offset:544
	;; [unrolled: 1-line block ×3, first 2 shown]
	v_lshrrev_b32_e32 v24, 22, v124
	v_fma_f64 v[56:57], v[106:107], 2.0, -v[64:65]
	v_fma_f64 v[58:59], v[108:109], 2.0, -v[66:67]
	;; [unrolled: 1-line block ×4, first 2 shown]
	v_mul_lo_u16_e32 v25, 0x44, v24
	v_add_f64 v[52:53], v[56:57], -v[52:53]
	v_add_f64 v[54:55], v[58:59], -v[54:55]
	v_mul_u32_u24_e32 v20, 0x440, v128
	v_lshlrev_b32_e32 v21, 4, v129
	v_sub_u16_e32 v25, v81, v25
	v_fma_f64 v[56:57], v[56:57], 2.0, -v[52:53]
	v_fma_f64 v[58:59], v[58:59], 2.0, -v[54:55]
	v_add_f64 v[60:61], v[64:65], v[60:61]
	v_add_f64 v[62:63], v[66:67], -v[68:69]
	v_add3_u32 v20, 0, v20, v21
	v_lshlrev_b32_e32 v26, 5, v25
	v_lshrrev_b32_e32 v108, 22, v127
	v_fma_f64 v[64:65], v[64:65], 2.0, -v[60:61]
	v_fma_f64 v[66:67], v[66:67], 2.0, -v[62:63]
	ds_write_b128 v20, v[56:59]
	ds_write_b128 v20, v[64:67] offset:272
	ds_write_b128 v20, v[52:55] offset:544
	;; [unrolled: 1-line block ×3, first 2 shown]
	s_waitcnt lgkmcnt(0)
	s_barrier
	global_load_dwordx4 v[20:23], v90, s[4:5] offset:816
	global_load_dwordx4 v[28:31], v90, s[4:5] offset:832
	;; [unrolled: 1-line block ×4, first 2 shown]
	v_mul_lo_u16_e32 v26, 0x44, v108
	v_sub_u16_e32 v109, v82, v26
	v_lshlrev_b32_e32 v26, 5, v109
	global_load_dwordx4 v[40:43], v26, s[4:5] offset:816
	global_load_dwordx4 v[44:47], v26, s[4:5] offset:832
	v_mul_u32_u24_sdwa v26, v80, s2 dst_sel:DWORD dst_unused:UNUSED_PAD src0_sel:WORD_0 src1_sel:DWORD
	v_lshrrev_b32_e32 v110, 22, v26
	v_mul_lo_u16_e32 v26, 0x44, v110
	v_sub_u16_e32 v111, v80, v26
	v_lshlrev_b32_e32 v26, 5, v111
	global_load_dwordx4 v[48:51], v26, s[4:5] offset:816
	global_load_dwordx4 v[52:55], v26, s[4:5] offset:832
	v_mul_u32_u24_e32 v26, 0xcc0, v79
	v_lshlrev_b32_sdwa v27, v76, v83 dst_sel:DWORD dst_unused:UNUSED_PAD src0_sel:DWORD src1_sel:BYTE_0
	v_mul_u32_u24_e32 v24, 0xcc0, v24
	v_lshlrev_b32_e32 v25, 4, v25
	v_add3_u32 v83, 0, v26, v27
	v_add3_u32 v112, 0, v24, v25
	ds_read_b128 v[56:59], v226
	ds_read_b128 v[60:63], v226 offset:2720
	ds_read_b128 v[64:67], v226 offset:10880
	;; [unrolled: 1-line block ×5, first 2 shown]
	ds_read_b128 v[86:89], v85
	ds_read_b128 v[24:27], v84
	ds_read_b128 v[90:93], v226 offset:16320
	ds_read_b128 v[94:97], v226 offset:19040
	;; [unrolled: 1-line block ×4, first 2 shown]
	s_mov_b32 s2, 0xe8584caa
	s_mov_b32 s3, 0xbfebb67a
	;; [unrolled: 1-line block ×3, first 2 shown]
	s_waitcnt lgkmcnt(0)
	s_barrier
	s_waitcnt vmcnt(7)
	v_mul_f64 v[106:107], v[66:67], v[22:23]
	v_mul_f64 v[22:23], v[64:65], v[22:23]
	v_fmac_f64_e32 v[106:107], v[64:65], v[20:21]
	v_fma_f64 v[20:21], v[66:67], v[20:21], -v[22:23]
	s_waitcnt vmcnt(6)
	v_mul_f64 v[22:23], v[74:75], v[30:31]
	v_mul_f64 v[30:31], v[72:73], v[30:31]
	v_fmac_f64_e32 v[22:23], v[72:73], v[28:29]
	v_fma_f64 v[64:65], v[74:75], v[28:29], -v[30:31]
	;; [unrolled: 5-line block ×3, first 2 shown]
	s_waitcnt vmcnt(4)
	v_mul_f64 v[28:29], v[76:77], v[38:39]
	v_mul_f64 v[70:71], v[78:79], v[38:39]
	v_fma_f64 v[72:73], v[78:79], v[36:37], -v[28:29]
	s_waitcnt vmcnt(3)
	v_mul_f64 v[28:29], v[90:91], v[42:43]
	v_fmac_f64_e32 v[70:71], v[76:77], v[36:37]
	v_mul_f64 v[74:75], v[92:93], v[42:43]
	v_fma_f64 v[76:77], v[92:93], v[40:41], -v[28:29]
	s_waitcnt vmcnt(2)
	v_mul_f64 v[28:29], v[98:99], v[46:47]
	v_fmac_f64_e32 v[74:75], v[90:91], v[40:41]
	v_fma_f64 v[90:91], v[100:101], v[44:45], -v[28:29]
	s_waitcnt vmcnt(1)
	v_mul_f64 v[92:93], v[96:97], v[50:51]
	v_mul_f64 v[28:29], v[94:95], v[50:51]
	;; [unrolled: 1-line block ×3, first 2 shown]
	v_fmac_f64_e32 v[92:93], v[94:95], v[48:49]
	v_fma_f64 v[94:95], v[96:97], v[48:49], -v[28:29]
	s_waitcnt vmcnt(0)
	v_mul_f64 v[28:29], v[102:103], v[54:55]
	v_add_f64 v[30:31], v[106:107], v[22:23]
	v_fmac_f64_e32 v[78:79], v[98:99], v[44:45]
	v_fma_f64 v[98:99], v[104:105], v[52:53], -v[28:29]
	v_add_f64 v[28:29], v[56:57], v[106:107]
	v_fmac_f64_e32 v[56:57], -0.5, v[30:31]
	v_add_f64 v[30:31], v[20:21], -v[64:65]
	v_fma_f64 v[32:33], s[2:3], v[30:31], v[56:57]
	v_fmac_f64_e32 v[56:57], s[6:7], v[30:31]
	v_add_f64 v[30:31], v[58:59], v[20:21]
	v_add_f64 v[20:21], v[20:21], v[64:65]
	v_fmac_f64_e32 v[58:59], -0.5, v[20:21]
	v_add_f64 v[20:21], v[106:107], -v[22:23]
	v_fma_f64 v[34:35], s[6:7], v[20:21], v[58:59]
	v_fmac_f64_e32 v[58:59], s[2:3], v[20:21]
	v_add_f64 v[20:21], v[60:61], v[66:67]
	v_add_f64 v[36:37], v[20:21], v[70:71]
	v_add_f64 v[20:21], v[66:67], v[70:71]
	v_fmac_f64_e32 v[60:61], -0.5, v[20:21]
	v_add_f64 v[20:21], v[68:69], -v[72:73]
	v_fma_f64 v[40:41], s[2:3], v[20:21], v[60:61]
	v_fmac_f64_e32 v[60:61], s[6:7], v[20:21]
	v_add_f64 v[20:21], v[62:63], v[68:69]
	;; [unrolled: 7-line block ×4, first 2 shown]
	v_add_f64 v[46:47], v[20:21], v[90:91]
	v_add_f64 v[20:21], v[76:77], v[90:91]
	v_mul_f64 v[96:97], v[104:105], v[54:55]
	v_fmac_f64_e32 v[88:89], -0.5, v[20:21]
	v_add_f64 v[20:21], v[74:75], -v[78:79]
	v_fmac_f64_e32 v[96:97], v[102:103], v[52:53]
	v_fma_f64 v[50:51], s[6:7], v[20:21], v[88:89]
	v_fmac_f64_e32 v[88:89], s[2:3], v[20:21]
	v_add_f64 v[20:21], v[24:25], v[92:93]
	v_add_f64 v[52:53], v[20:21], v[96:97]
	;; [unrolled: 1-line block ×4, first 2 shown]
	v_fmac_f64_e32 v[24:25], -0.5, v[20:21]
	v_add_f64 v[22:23], v[94:95], -v[98:99]
	v_fma_f64 v[20:21], s[2:3], v[22:23], v[24:25]
	v_fmac_f64_e32 v[24:25], s[6:7], v[22:23]
	v_add_f64 v[22:23], v[26:27], v[94:95]
	v_add_f64 v[54:55], v[22:23], v[98:99]
	;; [unrolled: 1-line block ×4, first 2 shown]
	v_fmac_f64_e32 v[26:27], -0.5, v[22:23]
	v_add_f64 v[64:65], v[92:93], -v[96:97]
	v_fma_f64 v[22:23], s[6:7], v[64:65], v[26:27]
	v_fmac_f64_e32 v[26:27], s[2:3], v[64:65]
	s_mov_b32 s2, 0x5040100
	ds_write_b128 v83, v[28:31]
	ds_write_b128 v83, v[32:35] offset:1088
	ds_write_b128 v83, v[56:59] offset:2176
	ds_write_b128 v112, v[36:39]
	ds_write_b128 v112, v[40:43] offset:1088
	ds_write_b128 v112, v[60:63] offset:2176
	v_perm_b32 v28, v110, v108, s2
	v_pk_mul_lo_u16 v28, v28, s8 op_sel_hi:[1,0]
	v_lshlrev_b32_e32 v30, 4, v109
	v_and_b32_e32 v29, 0xffc0, v28
	v_add3_u32 v29, 0, v29, v30
	ds_write_b128 v29, v[44:47]
	ds_write_b128 v29, v[48:51] offset:1088
	ds_write_b128 v29, v[86:89] offset:2176
	v_lshrrev_b32_e32 v28, 16, v28
	v_lshlrev_b32_e32 v29, 4, v111
	v_add3_u32 v28, 0, v28, v29
	ds_write_b128 v28, v[52:55]
	ds_write_b128 v28, v[20:23] offset:1088
	ds_write_b128 v28, v[24:27] offset:2176
	s_waitcnt lgkmcnt(0)
	s_barrier
	ds_read_b128 v[40:43], v226
	ds_read_b128 v[76:79], v226 offset:3264
	ds_read_b128 v[72:75], v226 offset:6528
	;; [unrolled: 1-line block ×9, first 2 shown]
                                        ; implicit-def: $vgpr34_vgpr35
                                        ; implicit-def: $vgpr38_vgpr39
                                        ; implicit-def: $vgpr30_vgpr31
	s_and_saveexec_b64 s[2:3], vcc
	s_cbranch_execz .LBB0_15
; %bb.14:
	ds_read_b128 v[20:23], v226 offset:2720
	ds_read_b128 v[24:27], v226 offset:5984
	;; [unrolled: 1-line block ×10, first 2 shown]
.LBB0_15:
	s_or_b64 exec, exec, s[2:3]
	v_mul_u32_u24_e32 v83, 9, v122
	v_lshlrev_b32_e32 v83, 4, v83
	global_load_dwordx4 v[86:89], v83, s[4:5] offset:2992
	global_load_dwordx4 v[90:93], v83, s[4:5] offset:3008
	;; [unrolled: 1-line block ×9, first 2 shown]
	s_mov_b32 s2, 0x134454ff
	s_mov_b32 s3, 0xbfee6f0e
	;; [unrolled: 1-line block ×16, first 2 shown]
	s_waitcnt lgkmcnt(0)
	s_barrier
	s_waitcnt vmcnt(8)
	v_mul_f64 v[124:125], v[78:79], v[88:89]
	s_waitcnt vmcnt(7)
	v_mul_f64 v[126:127], v[74:75], v[92:93]
	v_fmac_f64_e32 v[126:127], v[72:73], v[90:91]
	s_waitcnt vmcnt(5)
	v_mul_f64 v[130:131], v[66:67], v[100:101]
	v_mul_f64 v[92:93], v[72:73], v[92:93]
	s_waitcnt vmcnt(3)
	v_mul_f64 v[134:135], v[58:59], v[108:109]
	v_fmac_f64_e32 v[130:131], v[64:65], v[98:99]
	s_waitcnt vmcnt(1)
	v_mul_f64 v[138:139], v[50:51], v[116:117]
	s_waitcnt vmcnt(0)
	v_mul_f64 v[140:141], v[46:47], v[120:121]
	v_mul_f64 v[120:121], v[44:45], v[120:121]
	;; [unrolled: 1-line block ×3, first 2 shown]
	v_fmac_f64_e32 v[134:135], v[56:57], v[106:107]
	v_fmac_f64_e32 v[140:141], v[44:45], v[118:119]
	v_fma_f64 v[44:45], v[46:47], v[118:119], -v[120:121]
	v_add_f64 v[46:47], v[40:41], v[126:127]
	v_mul_f64 v[88:89], v[76:77], v[88:89]
	v_mul_f64 v[128:129], v[70:71], v[96:97]
	;; [unrolled: 1-line block ×9, first 2 shown]
	v_fma_f64 v[72:73], v[74:75], v[90:91], -v[92:93]
	v_fmac_f64_e32 v[138:139], v[48:49], v[114:115]
	v_fma_f64 v[48:49], v[50:51], v[114:115], -v[116:117]
	v_add_f64 v[50:51], v[130:131], v[134:135]
	v_add_f64 v[46:47], v[46:47], v[130:131]
	v_fmac_f64_e32 v[124:125], v[76:77], v[86:87]
	v_fma_f64 v[76:77], v[78:79], v[86:87], -v[88:89]
	v_fmac_f64_e32 v[128:129], v[68:69], v[94:95]
	v_fma_f64 v[68:69], v[70:71], v[94:95], -v[96:97]
	v_fma_f64 v[64:65], v[66:67], v[98:99], -v[100:101]
	v_fmac_f64_e32 v[132:133], v[60:61], v[102:103]
	v_fma_f64 v[60:61], v[62:63], v[102:103], -v[104:105]
	;; [unrolled: 3-line block ×3, first 2 shown]
	v_add_f64 v[54:55], v[72:73], -v[48:49]
	v_add_f64 v[62:63], v[126:127], -v[130:131]
	v_add_f64 v[66:67], v[138:139], -v[134:135]
	v_add_f64 v[70:71], v[126:127], v[138:139]
	v_add_f64 v[74:75], v[130:131], -v[126:127]
	v_add_f64 v[78:79], v[134:135], -v[138:139]
	v_fma_f64 v[88:89], -0.5, v[50:51], v[40:41]
	v_add_f64 v[46:47], v[46:47], v[134:135]
	v_add_f64 v[58:59], v[64:65], -v[56:57]
	v_add_f64 v[86:87], v[42:43], v[72:73]
	v_add_f64 v[50:51], v[62:63], v[66:67]
	v_fmac_f64_e32 v[40:41], -0.5, v[70:71]
	v_add_f64 v[62:63], v[74:75], v[78:79]
	v_fma_f64 v[70:71], s[2:3], v[54:55], v[88:89]
	v_fmac_f64_e32 v[88:89], s[10:11], v[54:55]
	v_add_f64 v[78:79], v[46:47], v[138:139]
	v_add_f64 v[46:47], v[64:65], v[56:57]
	;; [unrolled: 1-line block ×3, first 2 shown]
	v_fma_f64 v[74:75], s[10:11], v[58:59], v[40:41]
	v_fmac_f64_e32 v[40:41], s[2:3], v[58:59]
	v_fmac_f64_e32 v[70:71], s[6:7], v[58:59]
	;; [unrolled: 1-line block ×3, first 2 shown]
	v_fma_f64 v[86:87], -0.5, v[46:47], v[42:43]
	v_add_f64 v[46:47], v[126:127], -v[138:139]
	v_fmac_f64_e32 v[74:75], s[6:7], v[54:55]
	v_fmac_f64_e32 v[40:41], s[12:13], v[54:55]
	;; [unrolled: 1-line block ×4, first 2 shown]
	v_fma_f64 v[90:91], s[10:11], v[46:47], v[86:87]
	v_add_f64 v[50:51], v[130:131], -v[134:135]
	v_add_f64 v[54:55], v[72:73], -v[64:65]
	;; [unrolled: 1-line block ×3, first 2 shown]
	v_fmac_f64_e32 v[86:87], s[2:3], v[46:47]
	v_fmac_f64_e32 v[90:91], s[12:13], v[50:51]
	v_add_f64 v[54:55], v[54:55], v[58:59]
	v_fmac_f64_e32 v[86:87], s[6:7], v[50:51]
	v_fmac_f64_e32 v[90:91], s[8:9], v[54:55]
	;; [unrolled: 1-line block ×3, first 2 shown]
	v_add_f64 v[54:55], v[72:73], v[48:49]
	v_fmac_f64_e32 v[42:43], -0.5, v[54:55]
	v_fma_f64 v[92:93], s[2:3], v[50:51], v[42:43]
	v_fmac_f64_e32 v[42:43], s[10:11], v[50:51]
	v_fmac_f64_e32 v[92:93], s[12:13], v[46:47]
	v_fmac_f64_e32 v[42:43], s[6:7], v[46:47]
	v_add_f64 v[46:47], v[124:125], v[128:129]
	v_add_f64 v[46:47], v[46:47], v[132:133]
	;; [unrolled: 1-line block ×5, first 2 shown]
	v_add_f64 v[54:55], v[64:65], -v[72:73]
	v_add_f64 v[48:49], v[56:57], -v[48:49]
	v_add_f64 v[64:65], v[46:47], v[140:141]
	v_add_f64 v[46:47], v[132:133], v[136:137]
	v_fmac_f64_e32 v[74:75], s[8:9], v[62:63]
	v_fmac_f64_e32 v[40:41], s[8:9], v[62:63]
	v_add_f64 v[48:49], v[54:55], v[48:49]
	v_fma_f64 v[62:63], -0.5, v[46:47], v[124:125]
	v_add_f64 v[46:47], v[68:69], -v[44:45]
	v_fmac_f64_e32 v[92:93], s[8:9], v[48:49]
	v_fmac_f64_e32 v[42:43], s[8:9], v[48:49]
	v_fma_f64 v[50:51], s[2:3], v[46:47], v[62:63]
	v_add_f64 v[48:49], v[60:61], -v[52:53]
	v_add_f64 v[54:55], v[128:129], -v[132:133]
	;; [unrolled: 1-line block ×3, first 2 shown]
	v_fmac_f64_e32 v[62:63], s[10:11], v[46:47]
	v_fmac_f64_e32 v[50:51], s[6:7], v[48:49]
	v_add_f64 v[54:55], v[54:55], v[56:57]
	v_fmac_f64_e32 v[62:63], s[12:13], v[48:49]
	v_fmac_f64_e32 v[50:51], s[8:9], v[54:55]
	;; [unrolled: 1-line block ×3, first 2 shown]
	v_add_f64 v[54:55], v[128:129], v[140:141]
	v_fmac_f64_e32 v[124:125], -0.5, v[54:55]
	v_fma_f64 v[54:55], s[10:11], v[48:49], v[124:125]
	v_fmac_f64_e32 v[124:125], s[2:3], v[48:49]
	v_fmac_f64_e32 v[54:55], s[6:7], v[46:47]
	v_fmac_f64_e32 v[124:125], s[12:13], v[46:47]
	v_add_f64 v[46:47], v[76:77], v[68:69]
	v_add_f64 v[46:47], v[46:47], v[60:61]
	v_add_f64 v[46:47], v[46:47], v[52:53]
	v_add_f64 v[56:57], v[132:133], -v[128:129]
	v_add_f64 v[58:59], v[136:137], -v[140:141]
	v_add_f64 v[94:95], v[46:47], v[44:45]
	v_add_f64 v[46:47], v[60:61], v[52:53]
	;; [unrolled: 1-line block ×3, first 2 shown]
	v_fma_f64 v[72:73], -0.5, v[46:47], v[76:77]
	v_add_f64 v[46:47], v[128:129], -v[140:141]
	v_fmac_f64_e32 v[54:55], s[8:9], v[56:57]
	v_fmac_f64_e32 v[124:125], s[8:9], v[56:57]
	v_fma_f64 v[58:59], s[10:11], v[46:47], v[72:73]
	v_add_f64 v[48:49], v[132:133], -v[136:137]
	v_add_f64 v[56:57], v[68:69], -v[60:61]
	;; [unrolled: 1-line block ×3, first 2 shown]
	v_fmac_f64_e32 v[72:73], s[2:3], v[46:47]
	v_fmac_f64_e32 v[58:59], s[12:13], v[48:49]
	v_add_f64 v[56:57], v[56:57], v[96:97]
	v_fmac_f64_e32 v[72:73], s[6:7], v[48:49]
	v_fmac_f64_e32 v[58:59], s[8:9], v[56:57]
	;; [unrolled: 1-line block ×3, first 2 shown]
	v_add_f64 v[56:57], v[68:69], v[44:45]
	v_fmac_f64_e32 v[76:77], -0.5, v[56:57]
	v_fma_f64 v[96:97], s[2:3], v[48:49], v[76:77]
	v_add_f64 v[56:57], v[60:61], -v[68:69]
	v_add_f64 v[44:45], v[52:53], -v[44:45]
	v_fmac_f64_e32 v[76:77], s[10:11], v[48:49]
	v_fmac_f64_e32 v[96:97], s[12:13], v[46:47]
	v_add_f64 v[44:45], v[56:57], v[44:45]
	v_fmac_f64_e32 v[76:77], s[6:7], v[46:47]
	v_fmac_f64_e32 v[96:97], s[8:9], v[44:45]
	;; [unrolled: 1-line block ×3, first 2 shown]
	v_mul_f64 v[68:69], v[58:59], s[6:7]
	v_mul_f64 v[98:99], v[96:97], s[2:3]
	;; [unrolled: 1-line block ×8, first 2 shown]
	v_add_f64 v[44:45], v[78:79], v[64:65]
	v_fmac_f64_e32 v[68:69], s[14:15], v[50:51]
	v_fmac_f64_e32 v[98:99], s[8:9], v[54:55]
	;; [unrolled: 1-line block ×4, first 2 shown]
	v_add_f64 v[46:47], v[66:67], v[94:95]
	v_fmac_f64_e32 v[104:105], s[12:13], v[50:51]
	v_fmac_f64_e32 v[96:97], s[10:11], v[54:55]
	;; [unrolled: 1-line block ×4, first 2 shown]
	v_add_f64 v[48:49], v[70:71], v[68:69]
	v_add_f64 v[52:53], v[74:75], v[98:99]
	v_add_f64 v[56:57], v[40:41], v[100:101]
	v_add_f64 v[60:61], v[88:89], v[102:103]
	v_add_f64 v[50:51], v[90:91], v[104:105]
	v_add_f64 v[54:55], v[92:93], v[96:97]
	v_add_f64 v[58:59], v[42:43], v[106:107]
	v_add_f64 v[62:63], v[86:87], v[108:109]
	v_add_f64 v[64:65], v[78:79], -v[64:65]
	v_add_f64 v[68:69], v[70:71], -v[68:69]
	;; [unrolled: 1-line block ×10, first 2 shown]
	ds_write_b128 v226, v[44:47]
	ds_write_b128 v226, v[48:51] offset:3264
	ds_write_b128 v226, v[52:55] offset:6528
	;; [unrolled: 1-line block ×9, first 2 shown]
	s_and_saveexec_b64 s[18:19], vcc
	s_cbranch_execz .LBB0_17
; %bb.16:
	v_subrev_u32_e32 v40, 34, v122
	v_cndmask_b32_e32 v40, v40, v81, vcc
	v_mul_i32_i24_e32 v40, 9, v40
	v_mov_b32_e32 v41, 0
	v_lshl_add_u64 v[40:41], v[40:41], 4, s[4:5]
	global_load_dwordx4 v[54:57], v[40:41], off offset:3008
	global_load_dwordx4 v[58:61], v[40:41], off offset:3040
	;; [unrolled: 1-line block ×9, first 2 shown]
	s_waitcnt vmcnt(8)
	v_mul_f64 v[78:79], v[16:17], v[56:57]
	s_waitcnt vmcnt(7)
	v_mul_f64 v[98:99], v[8:9], v[60:61]
	;; [unrolled: 2-line block ×4, first 2 shown]
	v_mul_f64 v[40:41], v[18:19], v[56:57]
	v_mul_f64 v[42:43], v[38:39], v[64:65]
	v_mul_f64 v[44:45], v[10:11], v[60:61]
	v_mul_f64 v[46:47], v[2:3], v[68:69]
	s_waitcnt vmcnt(4)
	v_mul_f64 v[48:49], v[14:15], v[72:73]
	s_waitcnt vmcnt(3)
	v_mul_f64 v[50:51], v[6:7], v[76:77]
	;; [unrolled: 2-line block ×4, first 2 shown]
	v_mul_f64 v[60:61], v[4:5], v[76:77]
	v_mul_f64 v[64:65], v[28:29], v[92:93]
	s_waitcnt vmcnt(0)
	v_mul_f64 v[68:69], v[26:27], v[96:97]
	v_mul_f64 v[76:77], v[32:33], v[88:89]
	;; [unrolled: 1-line block ×3, first 2 shown]
	v_fma_f64 v[78:79], v[18:19], v[54:55], -v[78:79]
	v_fma_f64 v[92:93], v[10:11], v[58:59], -v[98:99]
	;; [unrolled: 1-line block ×4, first 2 shown]
	v_mul_f64 v[72:73], v[12:13], v[72:73]
	v_fmac_f64_e32 v[46:47], v[0:1], v[66:67]
	v_fmac_f64_e32 v[48:49], v[12:13], v[70:71]
	;; [unrolled: 1-line block ×3, first 2 shown]
	v_fma_f64 v[0:1], v[6:7], v[74:75], -v[60:61]
	v_add_f64 v[2:3], v[78:79], -v[92:93]
	v_add_f64 v[6:7], v[38:39], -v[96:97]
	v_fmac_f64_e32 v[44:45], v[8:9], v[58:59]
	v_fmac_f64_e32 v[50:51], v[4:5], v[74:75]
	v_fma_f64 v[4:5], v[30:31], v[90:91], -v[64:65]
	v_fmac_f64_e32 v[68:69], v[24:25], v[94:95]
	v_fma_f64 v[8:9], v[14:15], v[70:71], -v[72:73]
	v_fma_f64 v[12:13], v[34:35], v[86:87], -v[76:77]
	v_add_f64 v[74:75], v[2:3], v[6:7]
	v_add_f64 v[6:7], v[48:49], v[52:53]
	v_fmac_f64_e32 v[40:41], v[16:17], v[54:55]
	v_fmac_f64_e32 v[56:57], v[28:29], v[90:91]
	v_fma_f64 v[16:17], v[26:27], v[94:95], -v[88:89]
	v_fma_f64 v[86:87], -0.5, v[6:7], v[68:69]
	v_add_f64 v[6:7], v[0:1], -v[8:9]
	v_add_f64 v[90:91], v[4:5], -v[12:13]
	v_fmac_f64_e32 v[42:43], v[36:37], v[62:63]
	v_add_f64 v[24:25], v[48:49], -v[50:51]
	v_add_f64 v[26:27], v[52:53], -v[56:57]
	v_add_f64 v[30:31], v[50:51], v[56:57]
	v_add_f64 v[32:33], v[8:9], -v[12:13]
	v_add_f64 v[34:35], v[8:9], -v[0:1]
	;; [unrolled: 1-line block ×3, first 2 shown]
	v_add_f64 v[54:55], v[0:1], v[4:5]
	v_add_f64 v[90:91], v[6:7], v[90:91]
	;; [unrolled: 1-line block ×4, first 2 shown]
	v_add_f64 v[28:29], v[0:1], -v[4:5]
	v_add_f64 v[58:59], v[48:49], -v[52:53]
	v_add_f64 v[66:67], v[78:79], v[38:39]
	v_add_f64 v[24:25], v[24:25], v[26:27]
	v_fma_f64 v[26:27], -0.5, v[30:31], v[68:69]
	v_add_f64 v[30:31], v[34:35], v[36:37]
	v_fma_f64 v[34:35], -0.5, v[54:55], v[16:17]
	v_add_f64 v[0:1], v[8:9], v[0:1]
	v_add_f64 v[10:11], v[92:93], v[96:97]
	v_add_f64 v[60:61], v[50:51], -v[56:57]
	v_add_f64 v[62:63], v[92:93], -v[78:79]
	;; [unrolled: 1-line block ×3, first 2 shown]
	v_fma_f64 v[36:37], -0.5, v[66:67], v[22:23]
	v_fma_f64 v[66:67], s[2:3], v[58:59], v[34:35]
	v_fma_f64 v[88:89], s[2:3], v[28:29], v[86:87]
	v_fmac_f64_e32 v[86:87], s[10:11], v[28:29]
	v_add_f64 v[0:1], v[0:1], v[4:5]
	v_add_f64 v[14:15], v[40:41], -v[42:43]
	v_fma_f64 v[76:77], -0.5, v[10:11], v[22:23]
	v_add_f64 v[10:11], v[62:63], v[64:65]
	v_fma_f64 v[64:65], s[10:11], v[32:33], v[26:27]
	v_fmac_f64_e32 v[66:67], s[6:7], v[60:61]
	v_fmac_f64_e32 v[88:89], s[12:13], v[32:33]
	v_fma_f64 v[94:95], -0.5, v[6:7], v[16:17]
	v_fmac_f64_e32 v[86:87], s[6:7], v[32:33]
	v_fmac_f64_e32 v[26:27], s[2:3], v[32:33]
	v_add_f64 v[32:33], v[0:1], v[12:13]
	v_add_f64 v[0:1], v[40:41], -v[44:45]
	v_add_f64 v[4:5], v[42:43], -v[46:47]
	;; [unrolled: 1-line block ×5, first 2 shown]
	v_fma_f64 v[62:63], s[2:3], v[14:15], v[76:77]
	v_fmac_f64_e32 v[64:65], s[12:13], v[28:29]
	v_fmac_f64_e32 v[66:67], s[8:9], v[30:31]
	v_fma_f64 v[98:99], s[10:11], v[60:61], v[94:95]
	v_fmac_f64_e32 v[94:95], s[2:3], v[60:61]
	v_fmac_f64_e32 v[76:77], s[10:11], v[14:15]
	v_add_f64 v[12:13], v[0:1], v[4:5]
	v_add_f64 v[0:1], v[44:45], v[46:47]
	v_add_f64 v[4:5], v[44:45], -v[40:41]
	v_add_f64 v[8:9], v[46:47], -v[42:43]
	v_add_f64 v[54:55], v[70:71], v[72:73]
	v_fma_f64 v[70:71], s[10:11], v[18:19], v[36:37]
	v_fmac_f64_e32 v[62:63], s[6:7], v[18:19]
	v_fmac_f64_e32 v[64:65], s[8:9], v[24:25]
	v_mul_f64 v[72:73], v[66:67], s[20:21]
	v_fmac_f64_e32 v[98:99], s[6:7], v[58:59]
	v_fmac_f64_e32 v[36:37], s[2:3], v[18:19]
	;; [unrolled: 1-line block ×5, first 2 shown]
	v_add_f64 v[18:19], v[22:23], v[78:79]
	v_add_f64 v[22:23], v[78:79], -v[38:39]
	v_fma_f64 v[58:59], -0.5, v[0:1], v[20:21]
	v_mul_f64 v[66:67], v[66:67], s[6:7]
	v_add_f64 v[8:9], v[4:5], v[8:9]
	v_add_f64 v[4:5], v[40:41], v[42:43]
	v_fmac_f64_e32 v[72:73], s[12:13], v[64:65]
	v_fmac_f64_e32 v[34:35], s[12:13], v[60:61]
	v_add_f64 v[16:17], v[92:93], -v[96:97]
	v_fma_f64 v[60:61], s[10:11], v[22:23], v[58:59]
	v_fmac_f64_e32 v[66:67], s[20:21], v[64:65]
	v_fma_f64 v[64:65], -0.5, v[4:5], v[20:21]
	v_fmac_f64_e32 v[58:59], s[2:3], v[22:23]
	v_fmac_f64_e32 v[62:63], s[8:9], v[74:75]
	;; [unrolled: 1-line block ×4, first 2 shown]
	v_fma_f64 v[74:75], s[2:3], v[16:17], v[64:65]
	v_fmac_f64_e32 v[64:65], s[10:11], v[16:17]
	v_fmac_f64_e32 v[58:59], s[6:7], v[16:17]
	v_add_f64 v[16:17], v[20:21], v[40:41]
	v_add_f64 v[16:17], v[16:17], v[44:45]
	;; [unrolled: 1-line block ×3, first 2 shown]
	v_fmac_f64_e32 v[98:99], s[8:9], v[90:91]
	v_add_f64 v[40:41], v[16:17], v[42:43]
	v_add_f64 v[16:17], v[68:69], v[48:49]
	v_fmac_f64_e32 v[88:89], s[8:9], v[54:55]
	v_mul_f64 v[100:101], v[98:99], s[16:17]
	v_fmac_f64_e32 v[94:95], s[8:9], v[90:91]
	v_add_f64 v[18:19], v[18:19], v[92:93]
	v_mul_f64 v[78:79], v[98:99], s[2:3]
	v_add_f64 v[16:17], v[16:17], v[50:51]
	v_fmac_f64_e32 v[100:101], s[10:11], v[88:89]
	v_fmac_f64_e32 v[36:37], s[12:13], v[14:15]
	;; [unrolled: 1-line block ×3, first 2 shown]
	v_mul_f64 v[54:55], v[94:95], s[8:9]
	v_fmac_f64_e32 v[26:27], s[6:7], v[28:29]
	v_fmac_f64_e32 v[34:35], s[8:9], v[30:31]
	v_add_f64 v[18:19], v[18:19], v[96:97]
	v_fmac_f64_e32 v[78:79], s[16:17], v[88:89]
	v_mul_f64 v[88:89], v[94:95], s[2:3]
	v_add_f64 v[16:17], v[16:17], v[56:57]
	v_fmac_f64_e32 v[70:71], s[6:7], v[14:15]
	v_fmac_f64_e32 v[36:37], s[8:9], v[10:11]
	;; [unrolled: 1-line block ×4, first 2 shown]
	v_mul_f64 v[24:25], v[34:35], s[14:15]
	v_add_f64 v[28:29], v[18:19], v[38:39]
	v_fmac_f64_e32 v[74:75], s[12:13], v[22:23]
	v_fmac_f64_e32 v[64:65], s[6:7], v[22:23]
	;; [unrolled: 1-line block ×3, first 2 shown]
	v_mul_f64 v[86:87], v[34:35], s[6:7]
	v_add_f64 v[42:43], v[16:17], v[52:53]
	v_fmac_f64_e32 v[70:71], s[8:9], v[10:11]
	v_add_f64 v[10:11], v[36:37], -v[54:55]
	v_fmac_f64_e32 v[24:25], s[12:13], v[26:27]
	v_fmac_f64_e32 v[60:61], s[8:9], v[12:13]
	;; [unrolled: 1-line block ×6, first 2 shown]
	v_add_f64 v[30:31], v[36:37], v[54:55]
	v_add_f64 v[38:39], v[28:29], v[32:33]
	;; [unrolled: 1-line block ×3, first 2 shown]
	v_add_f64 v[2:3], v[62:63], -v[72:73]
	v_add_f64 v[6:7], v[70:71], -v[100:101]
	;; [unrolled: 1-line block ×9, first 2 shown]
	v_add_f64 v[22:23], v[62:63], v[72:73]
	v_add_f64 v[26:27], v[70:71], v[100:101]
	;; [unrolled: 1-line block ×7, first 2 shown]
	ds_write_b128 v226, v[36:39] offset:2720
	ds_write_b128 v226, v[32:35] offset:5984
	;; [unrolled: 1-line block ×10, first 2 shown]
.LBB0_17:
	s_or_b64 exec, exec, s[18:19]
	s_waitcnt lgkmcnt(0)
	s_barrier
	ds_read_b128 v[4:7], v226
	s_add_u32 s2, s4, 0x7e70
	v_lshlrev_b32_e32 v0, 4, v122
	s_addc_u32 s3, s5, 0
	v_sub_u32_e32 v14, 0, v0
	v_cmp_ne_u32_e32 vcc, 0, v122
                                        ; implicit-def: $vgpr0_vgpr1
                                        ; implicit-def: $vgpr10_vgpr11
                                        ; implicit-def: $vgpr12_vgpr13
                                        ; implicit-def: $vgpr8_vgpr9
	s_and_saveexec_b64 s[4:5], vcc
	s_xor_b64 s[4:5], exec, s[4:5]
	s_cbranch_execz .LBB0_19
; %bb.18:
	v_mov_b32_e32 v123, 0
	v_lshl_add_u64 v[0:1], v[122:123], 4, s[2:3]
	global_load_dwordx4 v[0:3], v[0:1], off
	ds_read_b128 v[8:11], v14 offset:32640
	s_waitcnt lgkmcnt(0)
	v_add_f64 v[16:17], v[4:5], v[8:9]
	v_add_f64 v[4:5], v[4:5], -v[8:9]
	v_add_f64 v[12:13], v[6:7], v[10:11]
	v_add_f64 v[6:7], v[6:7], -v[10:11]
	v_mul_f64 v[4:5], v[4:5], 0.5
	v_mul_f64 v[8:9], v[12:13], 0.5
	;; [unrolled: 1-line block ×3, first 2 shown]
	s_waitcnt vmcnt(0)
	v_mul_f64 v[18:19], v[4:5], v[2:3]
	v_fma_f64 v[12:13], v[8:9], v[2:3], v[6:7]
	v_fma_f64 v[2:3], v[8:9], v[2:3], -v[6:7]
	v_fma_f64 v[10:11], 0.5, v[16:17], v[18:19]
	v_fma_f64 v[6:7], v[16:17], 0.5, -v[18:19]
	v_fma_f64 v[12:13], -v[0:1], v[4:5], v[12:13]
	v_fma_f64 v[2:3], -v[0:1], v[4:5], v[2:3]
	v_fmac_f64_e32 v[10:11], v[8:9], v[0:1]
	v_fma_f64 v[0:1], -v[8:9], v[0:1], v[6:7]
	v_mov_b64_e32 v[8:9], v[122:123]
                                        ; implicit-def: $vgpr4_vgpr5
.LBB0_19:
	s_andn2_saveexec_b64 s[4:5], s[4:5]
	s_cbranch_execz .LBB0_21
; %bb.20:
	v_mov_b32_e32 v15, 0
	ds_read_b64 v[2:3], v15 offset:16328
	v_mov_b64_e32 v[12:13], 0
	s_waitcnt lgkmcnt(1)
	v_add_f64 v[10:11], v[4:5], v[6:7]
	v_add_f64 v[0:1], v[4:5], -v[6:7]
	v_mov_b64_e32 v[8:9], 0
	s_waitcnt lgkmcnt(0)
	v_xor_b32_e32 v3, 0x80000000, v3
	ds_write_b64 v15, v[2:3] offset:16328
	v_mov_b64_e32 v[2:3], v[12:13]
.LBB0_21:
	s_or_b64 exec, exec, s[4:5]
	s_waitcnt lgkmcnt(0)
	v_lshl_add_u64 v[4:5], v[8:9], 4, s[2:3]
	global_load_dwordx4 v[16:19], v[4:5], off offset:2720
	v_mov_b32_e32 v83, 0
	v_lshl_add_u64 v[6:7], v[82:83], 4, s[2:3]
	global_load_dwordx4 v[20:23], v[6:7], off
	v_mov_b32_e32 v81, v83
	v_lshl_add_u64 v[6:7], v[80:81], 4, s[2:3]
	global_load_dwordx4 v[24:27], v[6:7], off
	s_movk_i32 s2, 0x2000
	v_add_co_u32_e32 v6, vcc, s2, v4
	ds_write2_b64 v226, v[10:11], v[12:13] offset1:1
	ds_write_b128 v14, v[0:3] offset:32640
	v_addc_co_u32_e32 v7, vcc, 0, v5, vcc
	ds_read_b128 v[0:3], v226 offset:2720
	ds_read_b128 v[10:13], v14 offset:29920
	global_load_dwordx4 v[28:31], v[6:7], off offset:2688
	s_movk_i32 s3, 0x3000
	v_add_u32_e32 v15, 0x800, v226
	v_add_co_u32_e32 v4, vcc, s3, v4
	s_waitcnt lgkmcnt(0)
	v_add_f64 v[6:7], v[0:1], v[10:11]
	v_add_f64 v[0:1], v[0:1], -v[10:11]
	v_add_f64 v[32:33], v[2:3], v[12:13]
	v_add_f64 v[2:3], v[2:3], -v[12:13]
	v_mul_f64 v[0:1], v[0:1], 0.5
	v_mul_f64 v[10:11], v[32:33], 0.5
	;; [unrolled: 1-line block ×3, first 2 shown]
	v_addc_co_u32_e32 v5, vcc, 0, v5, vcc
	s_waitcnt vmcnt(3)
	v_mul_f64 v[12:13], v[0:1], v[18:19]
	v_fma_f64 v[32:33], v[10:11], v[18:19], v[2:3]
	v_fma_f64 v[2:3], v[10:11], v[18:19], -v[2:3]
	v_fma_f64 v[18:19], 0.5, v[6:7], v[12:13]
	v_fma_f64 v[32:33], -v[16:17], v[0:1], v[32:33]
	v_fma_f64 v[6:7], v[6:7], 0.5, -v[12:13]
	v_fmac_f64_e32 v[18:19], v[10:11], v[16:17]
	v_fma_f64 v[2:3], -v[16:17], v[0:1], v[2:3]
	v_fma_f64 v[0:1], -v[10:11], v[16:17], v[6:7]
	ds_write2_b64 v15, v[18:19], v[32:33] offset0:84 offset1:85
	ds_write_b128 v14, v[0:3] offset:29920
	ds_read_b128 v[0:3], v85
	ds_read_b128 v[10:13], v14 offset:27200
	global_load_dwordx4 v[4:7], v[4:5], off offset:1312
	v_add_u32_e32 v15, 0x2800, v226
	s_waitcnt lgkmcnt(0)
	v_add_f64 v[16:17], v[0:1], v[10:11]
	v_add_f64 v[0:1], v[0:1], -v[10:11]
	v_add_f64 v[18:19], v[2:3], v[12:13]
	v_add_f64 v[2:3], v[2:3], -v[12:13]
	v_mul_f64 v[0:1], v[0:1], 0.5
	v_mul_f64 v[10:11], v[18:19], 0.5
	;; [unrolled: 1-line block ×3, first 2 shown]
	s_waitcnt vmcnt(3)
	v_mul_f64 v[12:13], v[0:1], v[22:23]
	v_fma_f64 v[18:19], v[10:11], v[22:23], v[2:3]
	v_fma_f64 v[2:3], v[10:11], v[22:23], -v[2:3]
	v_fma_f64 v[22:23], 0.5, v[16:17], v[12:13]
	v_fma_f64 v[18:19], -v[20:21], v[0:1], v[18:19]
	v_fma_f64 v[12:13], v[16:17], 0.5, -v[12:13]
	v_fmac_f64_e32 v[22:23], v[10:11], v[20:21]
	v_fma_f64 v[2:3], -v[20:21], v[0:1], v[2:3]
	v_fma_f64 v[0:1], -v[10:11], v[20:21], v[12:13]
	ds_write2_b64 v85, v[22:23], v[18:19] offset1:1
	ds_write_b128 v14, v[0:3] offset:27200
	ds_read_b128 v[0:3], v84
	ds_read_b128 v[10:13], v14 offset:24480
	s_waitcnt lgkmcnt(0)
	v_add_f64 v[16:17], v[0:1], v[10:11]
	v_add_f64 v[0:1], v[0:1], -v[10:11]
	v_add_f64 v[18:19], v[2:3], v[12:13]
	v_add_f64 v[2:3], v[2:3], -v[12:13]
	v_mul_f64 v[0:1], v[0:1], 0.5
	v_mul_f64 v[10:11], v[18:19], 0.5
	;; [unrolled: 1-line block ×3, first 2 shown]
	s_waitcnt vmcnt(2)
	v_mul_f64 v[12:13], v[0:1], v[26:27]
	v_fma_f64 v[18:19], v[10:11], v[26:27], v[2:3]
	v_fma_f64 v[20:21], 0.5, v[16:17], v[12:13]
	v_fma_f64 v[2:3], v[10:11], v[26:27], -v[2:3]
	v_fma_f64 v[18:19], -v[24:25], v[0:1], v[18:19]
	v_fma_f64 v[12:13], v[16:17], 0.5, -v[12:13]
	v_fmac_f64_e32 v[20:21], v[10:11], v[24:25]
	v_fma_f64 v[2:3], -v[24:25], v[0:1], v[2:3]
	v_fma_f64 v[0:1], -v[10:11], v[24:25], v[12:13]
	ds_write2_b64 v84, v[20:21], v[18:19] offset1:1
	ds_write_b128 v14, v[0:3] offset:24480
	ds_read_b128 v[0:3], v226 offset:10880
	ds_read_b128 v[10:13], v14 offset:21760
	s_waitcnt lgkmcnt(0)
	v_add_f64 v[16:17], v[0:1], v[10:11]
	v_add_f64 v[0:1], v[0:1], -v[10:11]
	v_add_f64 v[18:19], v[2:3], v[12:13]
	v_add_f64 v[2:3], v[2:3], -v[12:13]
	v_mul_f64 v[0:1], v[0:1], 0.5
	v_mul_f64 v[10:11], v[18:19], 0.5
	;; [unrolled: 1-line block ×3, first 2 shown]
	s_waitcnt vmcnt(1)
	v_mul_f64 v[12:13], v[0:1], v[30:31]
	v_fma_f64 v[18:19], v[10:11], v[30:31], v[2:3]
	v_fma_f64 v[20:21], 0.5, v[16:17], v[12:13]
	v_fma_f64 v[2:3], v[10:11], v[30:31], -v[2:3]
	v_fma_f64 v[18:19], -v[28:29], v[0:1], v[18:19]
	v_fma_f64 v[12:13], v[16:17], 0.5, -v[12:13]
	v_fmac_f64_e32 v[20:21], v[10:11], v[28:29]
	v_fma_f64 v[2:3], -v[28:29], v[0:1], v[2:3]
	v_fma_f64 v[0:1], -v[10:11], v[28:29], v[12:13]
	ds_write2_b64 v15, v[20:21], v[18:19] offset0:80 offset1:81
	ds_write_b128 v14, v[0:3] offset:21760
	ds_read_b128 v[0:3], v226 offset:13600
	ds_read_b128 v[10:13], v14 offset:19040
	v_add_u32_e32 v15, 0x3000, v226
	s_waitcnt lgkmcnt(0)
	v_add_f64 v[16:17], v[0:1], v[10:11]
	v_add_f64 v[0:1], v[0:1], -v[10:11]
	v_add_f64 v[18:19], v[2:3], v[12:13]
	v_add_f64 v[2:3], v[2:3], -v[12:13]
	v_mul_f64 v[0:1], v[0:1], 0.5
	v_mul_f64 v[10:11], v[18:19], 0.5
	;; [unrolled: 1-line block ×3, first 2 shown]
	s_waitcnt vmcnt(0)
	v_mul_f64 v[12:13], v[0:1], v[6:7]
	v_fma_f64 v[18:19], v[10:11], v[6:7], v[2:3]
	v_fma_f64 v[2:3], v[10:11], v[6:7], -v[2:3]
	v_fma_f64 v[6:7], 0.5, v[16:17], v[12:13]
	v_fma_f64 v[18:19], -v[4:5], v[0:1], v[18:19]
	v_fma_f64 v[12:13], v[16:17], 0.5, -v[12:13]
	v_fmac_f64_e32 v[6:7], v[10:11], v[4:5]
	v_fma_f64 v[2:3], -v[4:5], v[0:1], v[2:3]
	v_fma_f64 v[0:1], -v[10:11], v[4:5], v[12:13]
	ds_write2_b64 v15, v[6:7], v[18:19] offset0:164 offset1:165
	ds_write_b128 v14, v[0:3] offset:19040
	s_waitcnt lgkmcnt(0)
	s_barrier
	s_and_saveexec_b64 s[4:5], s[0:1]
	s_cbranch_execz .LBB0_24
; %bb.22:
	ds_read_b128 v[0:3], v226
	ds_read_b128 v[4:7], v226 offset:2720
	v_lshl_add_u64 v[8:9], v[8:9], 4, v[228:229]
	v_add_co_u32_e32 v10, vcc, 0x1000, v8
	s_movk_i32 s0, 0x4000
	s_waitcnt lgkmcnt(1)
	global_store_dwordx4 v[8:9], v[0:3], off
	s_waitcnt lgkmcnt(0)
	global_store_dwordx4 v[8:9], v[4:7], off offset:2720
	ds_read_b128 v[0:3], v226 offset:5440
	ds_read_b128 v[4:7], v226 offset:8160
	v_addc_co_u32_e32 v11, vcc, 0, v9, vcc
	s_waitcnt lgkmcnt(1)
	global_store_dwordx4 v[10:11], v[0:3], off offset:1344
	s_waitcnt lgkmcnt(0)
	global_store_dwordx4 v[10:11], v[4:7], off offset:4064
	ds_read_b128 v[0:3], v226 offset:10880
	ds_read_b128 v[4:7], v226 offset:13600
	v_add_co_u32_e32 v10, vcc, s2, v8
	s_nop 1
	v_addc_co_u32_e32 v11, vcc, 0, v9, vcc
	s_waitcnt lgkmcnt(1)
	global_store_dwordx4 v[10:11], v[0:3], off offset:2688
	v_add_co_u32_e32 v10, vcc, s3, v8
	ds_read_b128 v[0:3], v226 offset:16320
	s_nop 0
	v_addc_co_u32_e32 v11, vcc, 0, v9, vcc
	s_waitcnt lgkmcnt(1)
	global_store_dwordx4 v[10:11], v[4:7], off offset:1312
	ds_read_b128 v[4:7], v226 offset:19040
	s_waitcnt lgkmcnt(1)
	global_store_dwordx4 v[10:11], v[0:3], off offset:4032
	s_nop 1
	v_add_co_u32_e32 v0, vcc, s0, v8
	s_movk_i32 s0, 0x5000
	s_nop 0
	v_addc_co_u32_e32 v1, vcc, 0, v9, vcc
	s_waitcnt lgkmcnt(0)
	global_store_dwordx4 v[0:1], v[4:7], off offset:2656
	ds_read_b128 v[0:3], v226 offset:21760
	ds_read_b128 v[4:7], v226 offset:24480
	v_add_co_u32_e32 v10, vcc, s0, v8
	s_movk_i32 s0, 0xa9
	s_nop 0
	v_addc_co_u32_e32 v11, vcc, 0, v9, vcc
	s_waitcnt lgkmcnt(1)
	global_store_dwordx4 v[10:11], v[0:3], off offset:1280
	s_waitcnt lgkmcnt(0)
	global_store_dwordx4 v[10:11], v[4:7], off offset:4000
	ds_read_b128 v[0:3], v226 offset:27200
	ds_read_b128 v[4:7], v226 offset:29920
	v_add_co_u32_e32 v10, vcc, 0x6000, v8
	s_nop 1
	v_addc_co_u32_e32 v11, vcc, 0, v9, vcc
	s_waitcnt lgkmcnt(1)
	global_store_dwordx4 v[10:11], v[0:3], off offset:2624
	s_nop 1
	v_add_co_u32_e32 v0, vcc, 0x7000, v8
	s_nop 1
	v_addc_co_u32_e32 v1, vcc, 0, v9, vcc
	v_cmp_eq_u32_e32 vcc, s0, v122
	s_waitcnt lgkmcnt(0)
	global_store_dwordx4 v[0:1], v[4:7], off offset:1248
	s_and_b64 exec, exec, vcc
	s_cbranch_execz .LBB0_24
; %bb.23:
	v_mov_b32_e32 v0, 0
	ds_read_b128 v[0:3], v0 offset:32640
	v_add_co_u32_e32 v4, vcc, 0x7000, v228
	s_nop 1
	v_addc_co_u32_e32 v5, vcc, 0, v229, vcc
	s_waitcnt lgkmcnt(0)
	global_store_dwordx4 v[4:5], v[0:3], off offset:3968
.LBB0_24:
	s_endpgm
	.section	.rodata,"a",@progbits
	.p2align	6, 0x0
	.amdhsa_kernel fft_rtc_back_len2040_factors_17_4_3_10_wgs_170_tpt_170_halfLds_dp_ip_CI_unitstride_sbrr_R2C_dirReg
		.amdhsa_group_segment_fixed_size 0
		.amdhsa_private_segment_fixed_size 0
		.amdhsa_kernarg_size 88
		.amdhsa_user_sgpr_count 2
		.amdhsa_user_sgpr_dispatch_ptr 0
		.amdhsa_user_sgpr_queue_ptr 0
		.amdhsa_user_sgpr_kernarg_segment_ptr 1
		.amdhsa_user_sgpr_dispatch_id 0
		.amdhsa_user_sgpr_kernarg_preload_length 0
		.amdhsa_user_sgpr_kernarg_preload_offset 0
		.amdhsa_user_sgpr_private_segment_size 0
		.amdhsa_uses_dynamic_stack 0
		.amdhsa_enable_private_segment 0
		.amdhsa_system_sgpr_workgroup_id_x 1
		.amdhsa_system_sgpr_workgroup_id_y 0
		.amdhsa_system_sgpr_workgroup_id_z 0
		.amdhsa_system_sgpr_workgroup_info 0
		.amdhsa_system_vgpr_workitem_id 0
		.amdhsa_next_free_vgpr 366
		.amdhsa_next_free_sgpr 56
		.amdhsa_accum_offset 256
		.amdhsa_reserve_vcc 1
		.amdhsa_float_round_mode_32 0
		.amdhsa_float_round_mode_16_64 0
		.amdhsa_float_denorm_mode_32 3
		.amdhsa_float_denorm_mode_16_64 3
		.amdhsa_dx10_clamp 1
		.amdhsa_ieee_mode 1
		.amdhsa_fp16_overflow 0
		.amdhsa_tg_split 0
		.amdhsa_exception_fp_ieee_invalid_op 0
		.amdhsa_exception_fp_denorm_src 0
		.amdhsa_exception_fp_ieee_div_zero 0
		.amdhsa_exception_fp_ieee_overflow 0
		.amdhsa_exception_fp_ieee_underflow 0
		.amdhsa_exception_fp_ieee_inexact 0
		.amdhsa_exception_int_div_zero 0
	.end_amdhsa_kernel
	.text
.Lfunc_end0:
	.size	fft_rtc_back_len2040_factors_17_4_3_10_wgs_170_tpt_170_halfLds_dp_ip_CI_unitstride_sbrr_R2C_dirReg, .Lfunc_end0-fft_rtc_back_len2040_factors_17_4_3_10_wgs_170_tpt_170_halfLds_dp_ip_CI_unitstride_sbrr_R2C_dirReg
                                        ; -- End function
	.section	.AMDGPU.csdata,"",@progbits
; Kernel info:
; codeLenInByte = 17312
; NumSgprs: 62
; NumVgprs: 256
; NumAgprs: 110
; TotalNumVgprs: 366
; ScratchSize: 0
; MemoryBound: 0
; FloatMode: 240
; IeeeMode: 1
; LDSByteSize: 0 bytes/workgroup (compile time only)
; SGPRBlocks: 7
; VGPRBlocks: 45
; NumSGPRsForWavesPerEU: 62
; NumVGPRsForWavesPerEU: 366
; AccumOffset: 256
; Occupancy: 1
; WaveLimiterHint : 1
; COMPUTE_PGM_RSRC2:SCRATCH_EN: 0
; COMPUTE_PGM_RSRC2:USER_SGPR: 2
; COMPUTE_PGM_RSRC2:TRAP_HANDLER: 0
; COMPUTE_PGM_RSRC2:TGID_X_EN: 1
; COMPUTE_PGM_RSRC2:TGID_Y_EN: 0
; COMPUTE_PGM_RSRC2:TGID_Z_EN: 0
; COMPUTE_PGM_RSRC2:TIDIG_COMP_CNT: 0
; COMPUTE_PGM_RSRC3_GFX90A:ACCUM_OFFSET: 63
; COMPUTE_PGM_RSRC3_GFX90A:TG_SPLIT: 0
	.text
	.p2alignl 6, 3212836864
	.fill 256, 4, 3212836864
	.type	__hip_cuid_a6cd9c8ec601f4a5,@object ; @__hip_cuid_a6cd9c8ec601f4a5
	.section	.bss,"aw",@nobits
	.globl	__hip_cuid_a6cd9c8ec601f4a5
__hip_cuid_a6cd9c8ec601f4a5:
	.byte	0                               ; 0x0
	.size	__hip_cuid_a6cd9c8ec601f4a5, 1

	.ident	"AMD clang version 19.0.0git (https://github.com/RadeonOpenCompute/llvm-project roc-6.4.0 25133 c7fe45cf4b819c5991fe208aaa96edf142730f1d)"
	.section	".note.GNU-stack","",@progbits
	.addrsig
	.addrsig_sym __hip_cuid_a6cd9c8ec601f4a5
	.amdgpu_metadata
---
amdhsa.kernels:
  - .agpr_count:     110
    .args:
      - .actual_access:  read_only
        .address_space:  global
        .offset:         0
        .size:           8
        .value_kind:     global_buffer
      - .offset:         8
        .size:           8
        .value_kind:     by_value
      - .actual_access:  read_only
        .address_space:  global
        .offset:         16
        .size:           8
        .value_kind:     global_buffer
      - .actual_access:  read_only
        .address_space:  global
        .offset:         24
        .size:           8
        .value_kind:     global_buffer
      - .offset:         32
        .size:           8
        .value_kind:     by_value
      - .actual_access:  read_only
        .address_space:  global
        .offset:         40
        .size:           8
        .value_kind:     global_buffer
      - .actual_access:  read_only
        .address_space:  global
        .offset:         48
        .size:           8
        .value_kind:     global_buffer
      - .offset:         56
        .size:           4
        .value_kind:     by_value
      - .actual_access:  read_only
        .address_space:  global
        .offset:         64
        .size:           8
        .value_kind:     global_buffer
      - .actual_access:  read_only
        .address_space:  global
        .offset:         72
        .size:           8
        .value_kind:     global_buffer
      - .address_space:  global
        .offset:         80
        .size:           8
        .value_kind:     global_buffer
    .group_segment_fixed_size: 0
    .kernarg_segment_align: 8
    .kernarg_segment_size: 88
    .language:       OpenCL C
    .language_version:
      - 2
      - 0
    .max_flat_workgroup_size: 170
    .name:           fft_rtc_back_len2040_factors_17_4_3_10_wgs_170_tpt_170_halfLds_dp_ip_CI_unitstride_sbrr_R2C_dirReg
    .private_segment_fixed_size: 0
    .sgpr_count:     62
    .sgpr_spill_count: 0
    .symbol:         fft_rtc_back_len2040_factors_17_4_3_10_wgs_170_tpt_170_halfLds_dp_ip_CI_unitstride_sbrr_R2C_dirReg.kd
    .uniform_work_group_size: 1
    .uses_dynamic_stack: false
    .vgpr_count:     366
    .vgpr_spill_count: 0
    .wavefront_size: 64
amdhsa.target:   amdgcn-amd-amdhsa--gfx950
amdhsa.version:
  - 1
  - 2
...

	.end_amdgpu_metadata
